;; amdgpu-corpus repo=ROCm/rocFFT kind=compiled arch=gfx1030 opt=O3
	.text
	.amdgcn_target "amdgcn-amd-amdhsa--gfx1030"
	.amdhsa_code_object_version 6
	.protected	bluestein_single_back_len1950_dim1_half_op_CI_CI ; -- Begin function bluestein_single_back_len1950_dim1_half_op_CI_CI
	.globl	bluestein_single_back_len1950_dim1_half_op_CI_CI
	.p2align	8
	.type	bluestein_single_back_len1950_dim1_half_op_CI_CI,@function
bluestein_single_back_len1950_dim1_half_op_CI_CI: ; @bluestein_single_back_len1950_dim1_half_op_CI_CI
; %bb.0:
	s_load_dwordx4 s[0:3], s[4:5], 0x28
	v_mul_u32_u24_e32 v1, 0x151, v0
	v_mov_b32_e32 v17, 0
	v_lshrrev_b32_e32 v1, 16, v1
	v_add_nc_u32_e32 v16, s6, v1
	s_waitcnt lgkmcnt(0)
	v_cmp_gt_u64_e32 vcc_lo, s[0:1], v[16:17]
	s_and_saveexec_b32 s0, vcc_lo
	s_cbranch_execz .LBB0_23
; %bb.1:
	s_clause 0x1
	s_load_dwordx2 s[14:15], s[4:5], 0x0
	s_load_dwordx2 s[12:13], s[4:5], 0x38
	v_mul_lo_u16 v1, 0xc3, v1
	v_sub_nc_u16 v0, v0, v1
	v_and_b32_e32 v38, 0xffff, v0
	v_cmp_gt_u16_e32 vcc_lo, 0x96, v0
	v_lshlrev_b32_e32 v37, 2, v38
	s_and_saveexec_b32 s1, vcc_lo
	s_cbranch_execz .LBB0_3
; %bb.2:
	s_load_dwordx2 s[6:7], s[4:5], 0x18
	s_waitcnt lgkmcnt(0)
	v_add_co_u32 v8, s0, s14, v37
	v_add_co_ci_u32_e64 v9, null, s15, 0, s0
	v_add_nc_u32_e32 v33, 0xe00, v37
	s_load_dwordx4 s[8:11], s[6:7], 0x0
	s_clause 0x3
	global_load_dword v10, v37, s[14:15]
	global_load_dword v11, v37, s[14:15] offset:600
	global_load_dword v12, v37, s[14:15] offset:1200
	;; [unrolled: 1-line block ×3, first 2 shown]
	s_waitcnt lgkmcnt(0)
	v_mad_u64_u32 v[0:1], null, s10, v16, 0
	v_mad_u64_u32 v[2:3], null, s8, v38, 0
	;; [unrolled: 1-line block ×4, first 2 shown]
	v_mov_b32_e32 v1, v4
	v_lshlrev_b64 v[0:1], 2, v[0:1]
	v_mov_b32_e32 v3, v5
	v_add_co_u32 v4, s0, s2, v0
	v_lshlrev_b64 v[2:3], 2, v[2:3]
	v_add_co_ci_u32_e64 v5, s0, s3, v1, s0
	v_add_co_u32 v0, s0, 0x800, v8
	v_add_co_ci_u32_e64 v1, s0, 0, v9, s0
	v_add_co_u32 v2, s0, v4, v2
	v_add_co_ci_u32_e64 v3, s0, v5, v3, s0
	s_mul_i32 s0, s9, 0x258
	s_mul_hi_u32 s2, s8, 0x258
	s_mul_i32 s3, s8, 0x258
	s_add_i32 s2, s2, s0
	global_load_dword v14, v[2:3], off
	v_add_co_u32 v2, s0, v2, s3
	v_add_co_ci_u32_e64 v3, s0, s2, v3, s0
	v_add_co_u32 v4, s0, 0x1000, v8
	v_add_co_ci_u32_e64 v5, s0, 0, v9, s0
	;; [unrolled: 2-line block ×3, first 2 shown]
	s_clause 0x1
	global_load_dword v15, v[2:3], off
	global_load_dword v17, v[6:7], off
	v_add_co_u32 v2, s0, v6, s3
	v_add_co_ci_u32_e64 v3, s0, s2, v7, s0
	v_add_co_u32 v6, s0, v2, s3
	v_add_co_ci_u32_e64 v7, s0, s2, v3, s0
	global_load_dword v18, v[2:3], off
	v_add_co_u32 v2, s0, v6, s3
	v_add_co_ci_u32_e64 v3, s0, s2, v7, s0
	s_clause 0x2
	global_load_dword v19, v[0:1], off offset:352
	global_load_dword v20, v[0:1], off offset:952
	;; [unrolled: 1-line block ×3, first 2 shown]
	global_load_dword v6, v[6:7], off
	global_load_dword v7, v[2:3], off
	v_add_co_u32 v0, s0, v2, s3
	v_add_co_ci_u32_e64 v1, s0, s2, v3, s0
	s_clause 0x3
	global_load_dword v22, v[4:5], off offset:104
	global_load_dword v23, v[4:5], off offset:704
	;; [unrolled: 1-line block ×4, first 2 shown]
	v_add_co_u32 v2, s0, v0, s3
	v_add_co_ci_u32_e64 v3, s0, s2, v1, s0
	global_load_dword v26, v[0:1], off
	v_add_co_u32 v0, s0, v2, s3
	v_add_co_ci_u32_e64 v1, s0, s2, v3, s0
	global_load_dword v27, v[2:3], off
	;; [unrolled: 3-line block ×5, first 2 shown]
	v_add_co_u32 v0, s0, v2, s3
	v_add_co_ci_u32_e64 v1, s0, s2, v3, s0
	v_add_co_u32 v4, s0, 0x1800, v8
	v_add_co_ci_u32_e64 v5, s0, 0, v9, s0
	global_load_dword v2, v[2:3], off
	global_load_dword v0, v[0:1], off
	s_clause 0x1
	global_load_dword v1, v[4:5], off offset:456
	global_load_dword v3, v[4:5], off offset:1056
	v_add_nc_u32_e32 v5, 0x400, v37
	v_add_nc_u32_e32 v8, 0x800, v37
	s_waitcnt vmcnt(21)
	v_lshrrev_b32_e32 v4, 16, v14
	v_mul_f16_sdwa v9, v10, v14 dst_sel:DWORD dst_unused:UNUSED_PAD src0_sel:WORD_1 src1_sel:DWORD
	v_mul_f16_sdwa v31, v10, v4 dst_sel:DWORD dst_unused:UNUSED_PAD src0_sel:WORD_1 src1_sel:DWORD
	v_fma_f16 v4, v10, v4, -v9
	v_fmac_f16_e32 v31, v10, v14
	s_waitcnt vmcnt(20)
	v_lshrrev_b32_e32 v32, 16, v15
	v_mul_f16_sdwa v34, v11, v15 dst_sel:DWORD dst_unused:UNUSED_PAD src0_sel:WORD_1 src1_sel:DWORD
	v_pack_b32_f16 v4, v31, v4
	s_waitcnt vmcnt(19)
	v_lshrrev_b32_e32 v10, 16, v17
	v_mul_f16_sdwa v9, v11, v32 dst_sel:DWORD dst_unused:UNUSED_PAD src0_sel:WORD_1 src1_sel:DWORD
	v_fma_f16 v14, v11, v32, -v34
	v_mul_f16_sdwa v32, v12, v17 dst_sel:DWORD dst_unused:UNUSED_PAD src0_sel:WORD_1 src1_sel:DWORD
	v_fmac_f16_e32 v9, v11, v15
	v_mul_f16_sdwa v11, v12, v10 dst_sel:DWORD dst_unused:UNUSED_PAD src0_sel:WORD_1 src1_sel:DWORD
	v_fma_f16 v10, v12, v10, -v32
	s_waitcnt vmcnt(18)
	v_lshrrev_b32_e32 v15, 16, v18
	v_mul_f16_sdwa v31, v13, v18 dst_sel:DWORD dst_unused:UNUSED_PAD src0_sel:WORD_1 src1_sel:DWORD
	v_pack_b32_f16 v9, v9, v14
	v_fmac_f16_e32 v11, v12, v17
	s_waitcnt vmcnt(14)
	v_mul_f16_sdwa v17, v19, v6 dst_sel:DWORD dst_unused:UNUSED_PAD src0_sel:WORD_1 src1_sel:DWORD
	v_mul_f16_sdwa v12, v13, v15 dst_sel:DWORD dst_unused:UNUSED_PAD src0_sel:WORD_1 src1_sel:DWORD
	v_fma_f16 v14, v13, v15, -v31
	v_lshrrev_b32_e32 v15, 16, v6
	ds_write2_b32 v37, v4, v9 offset1:150
	v_pack_b32_f16 v4, v11, v10
	s_waitcnt vmcnt(13)
	v_lshrrev_b32_e32 v10, 16, v7
	v_fmac_f16_e32 v12, v13, v18
	v_mul_f16_sdwa v9, v19, v15 dst_sel:DWORD dst_unused:UNUSED_PAD src0_sel:WORD_1 src1_sel:DWORD
	v_mul_f16_sdwa v11, v20, v7 dst_sel:DWORD dst_unused:UNUSED_PAD src0_sel:WORD_1 src1_sel:DWORD
	v_fma_f16 v13, v19, v15, -v17
	v_pack_b32_f16 v12, v12, v14
	v_fmac_f16_e32 v9, v19, v6
	v_mul_f16_sdwa v6, v20, v10 dst_sel:DWORD dst_unused:UNUSED_PAD src0_sel:WORD_1 src1_sel:DWORD
	v_fma_f16 v10, v20, v10, -v11
	s_waitcnt vmcnt(8)
	v_lshrrev_b32_e32 v11, 16, v26
	v_mul_f16_sdwa v14, v21, v26 dst_sel:DWORD dst_unused:UNUSED_PAD src0_sel:WORD_1 src1_sel:DWORD
	ds_write2_b32 v5, v4, v12 offset0:44 offset1:194
	v_fmac_f16_e32 v6, v20, v7
	s_waitcnt vmcnt(7)
	v_lshrrev_b32_e32 v7, 16, v27
	v_pack_b32_f16 v4, v9, v13
	v_mul_f16_sdwa v5, v21, v11 dst_sel:DWORD dst_unused:UNUSED_PAD src0_sel:WORD_1 src1_sel:DWORD
	v_fma_f16 v9, v21, v11, -v14
	v_mul_f16_sdwa v11, v22, v27 dst_sel:DWORD dst_unused:UNUSED_PAD src0_sel:WORD_1 src1_sel:DWORD
	v_pack_b32_f16 v6, v6, v10
	v_mul_f16_sdwa v10, v22, v7 dst_sel:DWORD dst_unused:UNUSED_PAD src0_sel:WORD_1 src1_sel:DWORD
	v_fmac_f16_e32 v5, v21, v26
	s_waitcnt vmcnt(6)
	v_lshrrev_b32_e32 v12, 16, v28
	v_fma_f16 v7, v22, v7, -v11
	v_mul_f16_sdwa v11, v23, v28 dst_sel:DWORD dst_unused:UNUSED_PAD src0_sel:WORD_1 src1_sel:DWORD
	v_fmac_f16_e32 v10, v22, v27
	s_waitcnt vmcnt(5)
	v_lshrrev_b32_e32 v13, 16, v29
	v_pack_b32_f16 v5, v5, v9
	v_mul_f16_sdwa v9, v23, v12 dst_sel:DWORD dst_unused:UNUSED_PAD src0_sel:WORD_1 src1_sel:DWORD
	v_fma_f16 v11, v23, v12, -v11
	v_mul_f16_sdwa v12, v24, v29 dst_sel:DWORD dst_unused:UNUSED_PAD src0_sel:WORD_1 src1_sel:DWORD
	v_pack_b32_f16 v7, v10, v7
	v_mul_f16_sdwa v10, v24, v13 dst_sel:DWORD dst_unused:UNUSED_PAD src0_sel:WORD_1 src1_sel:DWORD
	v_fmac_f16_e32 v9, v23, v28
	s_waitcnt vmcnt(4)
	v_lshrrev_b32_e32 v14, 16, v30
	v_fma_f16 v12, v24, v13, -v12
	v_mul_f16_sdwa v13, v25, v30 dst_sel:DWORD dst_unused:UNUSED_PAD src0_sel:WORD_1 src1_sel:DWORD
	v_fmac_f16_e32 v10, v24, v29
	s_waitcnt vmcnt(3)
	v_lshrrev_b32_e32 v15, 16, v2
	s_waitcnt vmcnt(2)
	v_lshrrev_b32_e32 v17, 16, v0
	v_pack_b32_f16 v9, v9, v11
	v_mul_f16_sdwa v11, v25, v14 dst_sel:DWORD dst_unused:UNUSED_PAD src0_sel:WORD_1 src1_sel:DWORD
	v_fma_f16 v13, v25, v14, -v13
	s_waitcnt vmcnt(1)
	v_mul_f16_sdwa v14, v1, v2 dst_sel:DWORD dst_unused:UNUSED_PAD src0_sel:WORD_1 src1_sel:DWORD
	v_pack_b32_f16 v10, v10, v12
	v_mul_f16_sdwa v12, v1, v15 dst_sel:DWORD dst_unused:UNUSED_PAD src0_sel:WORD_1 src1_sel:DWORD
	s_waitcnt vmcnt(0)
	v_mul_f16_sdwa v18, v3, v17 dst_sel:DWORD dst_unused:UNUSED_PAD src0_sel:WORD_1 src1_sel:DWORD
	v_mul_f16_sdwa v19, v3, v0 dst_sel:DWORD dst_unused:UNUSED_PAD src0_sel:WORD_1 src1_sel:DWORD
	v_fmac_f16_e32 v11, v25, v30
	v_fma_f16 v14, v1, v15, -v14
	v_fmac_f16_e32 v12, v1, v2
	v_fmac_f16_e32 v18, v3, v0
	v_fma_f16 v0, v3, v17, -v19
	v_add_nc_u32_e32 v1, 0x1200, v37
	v_pack_b32_f16 v2, v11, v13
	v_pack_b32_f16 v3, v12, v14
	v_add_nc_u32_e32 v11, 0x1600, v37
	v_pack_b32_f16 v0, v18, v0
	ds_write2_b32 v8, v4, v6 offset0:88 offset1:238
	ds_write2_b32 v33, v5, v7 offset0:4 offset1:154
	;; [unrolled: 1-line block ×4, first 2 shown]
	ds_write_b32 v37, v0 offset:7200
.LBB0_3:
	s_or_b32 exec_lo, exec_lo, s1
	s_clause 0x1
	s_load_dwordx2 s[0:1], s[4:5], 0x20
	s_load_dwordx2 s[2:3], s[4:5], 0x8
	v_mov_b32_e32 v4, 0
	s_waitcnt lgkmcnt(0)
	s_barrier
	buffer_gl0_inv
                                        ; implicit-def: $vgpr12
                                        ; implicit-def: $vgpr1
                                        ; implicit-def: $vgpr3
                                        ; implicit-def: $vgpr7
                                        ; implicit-def: $vgpr9
                                        ; implicit-def: $vgpr11
                                        ; kill: def $vgpr0 killed $sgpr0 killed $exec
	s_and_saveexec_b32 s4, vcc_lo
	s_cbranch_execz .LBB0_5
; %bb.4:
	v_add_nc_u32_e32 v0, 0x400, v37
	v_add_nc_u32_e32 v1, 0x800, v37
	v_add_nc_u32_e32 v2, 0xe00, v37
	v_add_nc_u32_e32 v3, 0x1200, v37
	v_add_nc_u32_e32 v12, 0x1600, v37
	ds_read2_b32 v[4:5], v37 offset1:150
	ds_read2_b32 v[10:11], v0 offset0:44 offset1:194
	ds_read2_b32 v[8:9], v1 offset0:88 offset1:238
	ds_read2_b32 v[6:7], v2 offset0:4 offset1:154
	ds_read2_b32 v[2:3], v3 offset0:48 offset1:198
	ds_read2_b32 v[0:1], v12 offset0:92 offset1:242
	ds_read_b32 v12, v37 offset:7200
.LBB0_5:
	s_or_b32 exec_lo, exec_lo, s4
	s_waitcnt lgkmcnt(0)
	v_pk_add_f16 v13, v5, v12 neg_lo:[0,1] neg_hi:[0,1]
	v_pk_add_f16 v15, v12, v5
	v_mov_b32_e32 v14, 0xb770
	v_mov_b32_e32 v50, 0xbbf1
	;; [unrolled: 1-line block ×3, first 2 shown]
	v_mul_f16_e32 v45, 0xba95, v13
	v_lshrrev_b32_e32 v26, 16, v15
	v_mul_f16_sdwa v33, v13, v14 dst_sel:DWORD dst_unused:UNUSED_PAD src0_sel:WORD_1 src1_sel:DWORD
	v_mul_f16_sdwa v48, v13, v50 dst_sel:DWORD dst_unused:UNUSED_PAD src0_sel:WORD_1 src1_sel:DWORD
	v_mul_f16_e32 v54, 0xbbf1, v13
	v_pk_add_f16 v14, v10, v1 neg_lo:[0,1] neg_hi:[0,1]
	v_fma_f16 v18, v26, 0x388b, -v45
	v_fmamk_f16 v17, v15, 0x3b15, v33
	v_fmamk_f16 v19, v15, 0x2fb7, v48
	v_fma_f16 v20, v26, 0x2fb7, -v54
	v_mov_b32_e32 v25, 0xb3a8
	v_add_f16_sdwa v22, v18, v4 dst_sel:DWORD dst_unused:UNUSED_PAD src0_sel:DWORD src1_sel:WORD_1
	v_pk_add_f16 v18, v1, v10
	v_mul_f16_sdwa v39, v14, v79 dst_sel:DWORD dst_unused:UNUSED_PAD src0_sel:WORD_1 src1_sel:DWORD
	v_mul_f16_e32 v47, 0xbb7b, v14
	v_mul_f16_e32 v59, 0xb3a8, v14
	v_add_f16_e32 v21, v17, v4
	v_lshrrev_b32_e32 v30, 16, v18
	v_add_f16_e32 v23, v19, v4
	v_add_f16_sdwa v20, v20, v4 dst_sel:DWORD dst_unused:UNUSED_PAD src0_sel:DWORD src1_sel:WORD_1
	v_mul_f16_sdwa v52, v14, v25 dst_sel:DWORD dst_unused:UNUSED_PAD src0_sel:WORD_1 src1_sel:DWORD
	v_fmamk_f16 v24, v18, 0x388b, v39
	v_pk_add_f16 v17, v11, v0 neg_lo:[0,1] neg_hi:[0,1]
	v_fma_f16 v27, v30, 0xb5ac, -v47
	v_fma_f16 v29, v30, 0xbbc4, -v59
	v_pk_add_f16 v19, v0, v11
	v_fmamk_f16 v28, v18, 0xbbc4, v52
	v_mul_f16_sdwa v34, v17, v50 dst_sel:DWORD dst_unused:UNUSED_PAD src0_sel:WORD_1 src1_sel:DWORD
	v_add_f16_e32 v24, v24, v21
	v_add_f16_e32 v22, v27, v22
	;; [unrolled: 1-line block ×3, first 2 shown]
	v_mov_b32_e32 v21, 0x3b7b
	v_lshrrev_b32_e32 v29, 16, v19
	v_pk_add_f16 v20, v8, v3 neg_lo:[0,1] neg_hi:[0,1]
	v_mov_b32_e32 v78, 0xbb7b
	v_mul_f16_e32 v51, 0xb3a8, v17
	v_add_f16_e32 v23, v28, v23
	v_fmamk_f16 v28, v19, 0x2fb7, v34
	v_mul_f16_sdwa v57, v17, v21 dst_sel:DWORD dst_unused:UNUSED_PAD src0_sel:WORD_1 src1_sel:DWORD
	v_mul_f16_e32 v67, 0x3b7b, v17
	v_pk_add_f16 v21, v3, v8
	v_mul_f16_sdwa v43, v20, v78 dst_sel:DWORD dst_unused:UNUSED_PAD src0_sel:WORD_1 src1_sel:DWORD
	v_fma_f16 v31, v29, 0xbbc4, -v51
	v_mov_b32_e32 v76, 0x3770
	v_fmamk_f16 v32, v19, 0xb5ac, v57
	v_add_f16_e32 v24, v28, v24
	v_fma_f16 v28, v29, 0xb5ac, -v67
	v_fmamk_f16 v35, v21, 0xb5ac, v43
	v_add_f16_e32 v36, v31, v22
	v_mul_f16_sdwa v56, v20, v76 dst_sel:DWORD dst_unused:UNUSED_PAD src0_sel:WORD_1 src1_sel:DWORD
	v_pk_add_f16 v22, v9, v2 neg_lo:[0,1] neg_hi:[0,1]
	v_mov_b32_e32 v81, 0xb94e
	v_add_f16_e32 v40, v32, v23
	v_add_f16_e32 v27, v28, v27
	;; [unrolled: 1-line block ×3, first 2 shown]
	v_lshrrev_b32_e32 v31, 16, v21
	v_mul_f16_e32 v53, 0x394e, v20
	v_pk_add_f16 v23, v2, v9
	v_fmamk_f16 v35, v21, 0x3b15, v56
	v_mul_f16_sdwa v46, v22, v81 dst_sel:DWORD dst_unused:UNUSED_PAD src0_sel:WORD_1 src1_sel:DWORD
	v_mul_f16_e32 v74, 0x3770, v20
	v_fma_f16 v24, v31, 0xb9fd, -v53
	v_mul_f16_sdwa v58, v22, v79 dst_sel:DWORD dst_unused:UNUSED_PAD src0_sel:WORD_1 src1_sel:DWORD
	v_add_f16_e32 v35, v35, v40
	v_fmamk_f16 v40, v23, 0xb9fd, v46
	v_fma_f16 v41, v31, 0x3b15, -v74
	v_lshrrev_b32_e32 v32, 16, v23
	v_mul_f16_e32 v55, 0x3bf1, v22
	v_add_f16_e32 v36, v24, v36
	v_pk_add_f16 v24, v6, v7 neg_lo:[0,1] neg_hi:[0,1]
	v_add_f16_e32 v28, v40, v28
	v_fmamk_f16 v40, v23, 0x388b, v58
	v_add_f16_e32 v41, v41, v27
	v_fma_f16 v42, v32, 0x2fb7, -v55
	v_mul_f16_e32 v77, 0xba95, v22
	v_mul_f16_sdwa v49, v24, v25 dst_sel:DWORD dst_unused:UNUSED_PAD src0_sel:WORD_1 src1_sel:DWORD
	v_pk_add_f16 v27, v7, v6
	v_add_f16_e32 v35, v40, v35
	v_pk_mul_f16 v40, 0x3b15388b, v15
	v_add_f16_e32 v25, v42, v36
	v_fma_f16 v36, v32, 0x388b, -v77
	v_fmamk_f16 v42, v27, 0xbbc4, v49
	v_pk_mul_f16 v61, 0x388bb5ac, v18
	v_pk_fma_f16 v62, 0xba95b770, v13, v40 op_sel:[0,0,1] op_sel_hi:[1,1,0] neg_lo:[0,1,0] neg_hi:[0,1,0]
	v_pk_fma_f16 v66, 0xba95b770, v13, v40 op_sel:[0,0,1] op_sel_hi:[1,1,0]
	v_add_f16_e32 v36, v36, v41
	v_add_f16_e32 v41, v42, v28
	v_pk_fma_f16 v60, 0xbb7bba95, v14, v61 op_sel:[0,0,1] op_sel_hi:[1,1,0] neg_lo:[0,1,0] neg_hi:[0,1,0]
	v_add_f16_sdwa v42, v62, v4 dst_sel:DWORD dst_unused:UNUSED_PAD src0_sel:DWORD src1_sel:WORD_1
	v_pk_mul_f16 v64, 0x2fb7bbc4, v19
	v_pk_fma_f16 v61, 0xbb7bba95, v14, v61 op_sel:[0,0,1] op_sel_hi:[1,1,0]
	v_pk_mul_f16 v68, 0xb5acb9fd, v21
	v_pk_mul_f16 v71, 0xb9fd2fb7, v23
	v_add_f16_e32 v40, v60, v42
	v_add_f16_sdwa v42, v66, v4 dst_sel:DWORD dst_unused:UNUSED_PAD src0_sel:WORD_1 src1_sel:DWORD
	v_pk_fma_f16 v63, 0xb3a8bbf1, v17, v64 op_sel:[0,0,1] op_sel_hi:[1,1,0] neg_lo:[0,1,0] neg_hi:[0,1,0]
	v_pk_fma_f16 v65, 0xb3a8bbf1, v17, v64 op_sel:[0,0,1] op_sel_hi:[1,1,0]
	v_pk_fma_f16 v64, 0x394ebb7b, v20, v68 op_sel:[0,0,1] op_sel_hi:[1,1,0] neg_lo:[0,1,0] neg_hi:[0,1,0]
	v_pk_fma_f16 v68, 0x394ebb7b, v20, v68 op_sel:[0,0,1] op_sel_hi:[1,1,0]
	v_add_f16_sdwa v42, v61, v42 dst_sel:DWORD dst_unused:UNUSED_PAD src0_sel:WORD_1 src1_sel:DWORD
	v_add_f16_e32 v40, v63, v40
	v_lshrrev_b32_e32 v44, 16, v27
	v_mul_f16_e32 v70, 0x3770, v24
	v_mul_f16_sdwa v75, v24, v81 dst_sel:DWORD dst_unused:UNUSED_PAD src0_sel:WORD_1 src1_sel:DWORD
	v_add_f16_sdwa v42, v65, v42 dst_sel:DWORD dst_unused:UNUSED_PAD src0_sel:WORD_1 src1_sel:DWORD
	v_mul_f16_e32 v80, 0xb94e, v24
	v_add_f16_e32 v40, v64, v40
	v_pk_fma_f16 v69, 0x3bf1b94e, v22, v71 op_sel:[0,0,1] op_sel_hi:[1,1,0] neg_lo:[0,1,0] neg_hi:[0,1,0]
	v_pk_mul_f16 v73, 0xbbc43b15, v27
	v_pk_fma_f16 v72, 0x3bf1b94e, v22, v71 op_sel:[0,0,1] op_sel_hi:[1,1,0]
	v_add_f16_sdwa v42, v68, v42 dst_sel:DWORD dst_unused:UNUSED_PAD src0_sel:WORD_1 src1_sel:DWORD
	v_fma_f16 v28, v44, 0x3b15, -v70
	v_fmamk_f16 v82, v27, 0xb9fd, v75
	v_fma_f16 v83, v44, 0xb9fd, -v80
	v_add_f16_e32 v40, v69, v40
	v_pk_fma_f16 v71, 0x3770b3a8, v24, v73 op_sel:[0,0,1] op_sel_hi:[1,1,0] neg_lo:[0,1,0] neg_hi:[0,1,0]
	v_pk_fma_f16 v73, 0x3770b3a8, v24, v73 op_sel:[0,0,1] op_sel_hi:[1,1,0]
	v_add_f16_sdwa v84, v72, v42 dst_sel:DWORD dst_unused:UNUSED_PAD src0_sel:WORD_1 src1_sel:DWORD
	v_add_f16_e32 v28, v28, v25
	v_add_f16_e32 v25, v82, v35
	v_add_f16_e32 v36, v83, v36
	v_add_f16_e32 v42, v71, v40
	v_add_f16_sdwa v35, v73, v84 dst_sel:DWORD dst_unused:UNUSED_PAD src0_sel:WORD_1 src1_sel:DWORD
	v_mul_lo_u16 v40, v38, 13
	s_barrier
	buffer_gl0_inv
	s_and_saveexec_b32 s4, vcc_lo
	s_cbranch_execz .LBB0_7
; %bb.6:
	v_mul_f16_e32 v82, 0xb94e, v13
	v_mul_f16_e32 v83, 0x3bf1, v14
	v_mul_f16_sdwa v81, v13, v81 dst_sel:DWORD dst_unused:UNUSED_PAD src0_sel:WORD_1 src1_sel:DWORD
	v_mov_b32_e32 v84, 0x3bf1
	v_mul_f16_e32 v85, 0xba95, v17
	v_fmamk_f16 v86, v26, 0xb9fd, v82
	v_fmamk_f16 v89, v30, 0x2fb7, v83
	v_fma_f16 v88, v15, 0xb9fd, -v81
	v_mul_f16_sdwa v84, v14, v84 dst_sel:DWORD dst_unused:UNUSED_PAD src0_sel:WORD_1 src1_sel:DWORD
	v_mul_f16_e32 v87, 0x33a8, v20
	v_add_f16_sdwa v86, v86, v4 dst_sel:DWORD dst_unused:UNUSED_PAD src0_sel:DWORD src1_sel:WORD_1
	v_mul_f16_sdwa v79, v17, v79 dst_sel:DWORD dst_unused:UNUSED_PAD src0_sel:WORD_1 src1_sel:DWORD
	v_add_f16_e32 v88, v88, v4
	v_fma_f16 v90, v18, 0x2fb7, -v84
	v_mov_b32_e32 v91, 0x33a8
	v_add_f16_e32 v86, v89, v86
	v_fmamk_f16 v89, v29, 0x388b, v85
	v_mul_f16_e32 v93, 0xbb7b, v13
	v_fmamk_f16 v92, v31, 0xbbc4, v87
	v_add_f16_e32 v88, v90, v88
	v_mul_f16_sdwa v90, v20, v91 dst_sel:DWORD dst_unused:UNUSED_PAD src0_sel:WORD_1 src1_sel:DWORD
	v_fma_f16 v94, v19, 0x388b, -v79
	v_add_f16_e32 v86, v89, v86
	v_mul_f16_e32 v89, 0x3770, v22
	v_fmamk_f16 v96, v26, 0xb5ac, v93
	v_mul_f16_e32 v97, 0x394e, v14
	v_fma_f16 v95, v21, 0xbbc4, -v90
	v_add_f16_e32 v88, v94, v88
	v_add_f16_e32 v86, v92, v86
	v_mul_f16_sdwa v92, v22, v76 dst_sel:DWORD dst_unused:UNUSED_PAD src0_sel:WORD_1 src1_sel:DWORD
	v_add_f16_sdwa v94, v96, v4 dst_sel:DWORD dst_unused:UNUSED_PAD src0_sel:DWORD src1_sel:WORD_1
	v_fmamk_f16 v96, v30, 0xb9fd, v97
	v_mul_f16_e32 v98, 0x3770, v17
	v_fmamk_f16 v99, v32, 0x3b15, v89
	v_add_f16_e32 v88, v95, v88
	v_fma_f16 v95, v23, 0x3b15, -v92
	v_add_f16_e32 v94, v96, v94
	v_fmamk_f16 v96, v29, 0x3b15, v98
	v_mul_f16_e32 v100, 0xbbf1, v20
	v_add_f16_e32 v86, v99, v86
	v_mul_f16_e32 v99, 0xbb7b, v24
	v_mul_f16_sdwa v101, v24, v78 dst_sel:DWORD dst_unused:UNUSED_PAD src0_sel:WORD_1 src1_sel:DWORD
	v_add_f16_e32 v94, v96, v94
	v_fmamk_f16 v96, v31, 0x2fb7, v100
	v_mul_f16_e32 v102, 0x33a8, v22
	v_fmamk_f16 v103, v44, 0xb5ac, v99
	v_add_f16_e32 v88, v95, v88
	v_fma_f16 v95, v27, 0xb5ac, -v101
	v_add_f16_e32 v94, v96, v94
	v_fmamk_f16 v96, v32, 0xbbc4, v102
	v_add_f16_e32 v86, v103, v86
	v_mul_f16_sdwa v78, v13, v78 dst_sel:DWORD dst_unused:UNUSED_PAD src0_sel:WORD_1 src1_sel:DWORD
	v_mov_b32_e32 v103, 0x394e
	v_add_f16_e32 v88, v95, v88
	v_mul_f16_e32 v95, 0x2fb7, v26
	v_add_f16_e32 v94, v96, v94
	v_fma_f16 v96, v15, 0xb5ac, -v78
	v_mul_f16_sdwa v103, v14, v103 dst_sel:DWORD dst_unused:UNUSED_PAD src0_sel:WORD_1 src1_sel:DWORD
	v_mul_f16_e32 v105, 0xbbc4, v30
	v_add_f16_e32 v54, v54, v95
	v_mul_f16_sdwa v76, v17, v76 dst_sel:DWORD dst_unused:UNUSED_PAD src0_sel:WORD_1 src1_sel:DWORD
	v_add_f16_e32 v95, v96, v4
	v_fma_f16 v96, v18, 0xb9fd, -v103
	v_add_f16_e32 v59, v59, v105
	v_add_f16_sdwa v54, v54, v4 dst_sel:DWORD dst_unused:UNUSED_PAD src0_sel:DWORD src1_sel:WORD_1
	v_mul_f16_e32 v105, 0xb5ac, v29
	v_mul_f16_sdwa v50, v20, v50 dst_sel:DWORD dst_unused:UNUSED_PAD src0_sel:WORD_1 src1_sel:DWORD
	v_add_f16_e32 v95, v96, v95
	v_fma_f16 v96, v19, 0x3b15, -v76
	v_add_f16_e32 v54, v59, v54
	v_add_f16_e32 v59, v67, v105
	v_mul_f16_e32 v67, 0x3b15, v31
	v_mul_f16_e32 v104, 0x3a95, v24
	v_add_f16_e32 v95, v96, v95
	v_fma_f16 v96, v21, 0x2fb7, -v50
	v_add_f16_e32 v54, v59, v54
	v_add_f16_e32 v59, v74, v67
	v_mul_f16_e32 v67, 0x2fb7, v15
	v_mul_f16_sdwa v91, v22, v91 dst_sel:DWORD dst_unused:UNUSED_PAD src0_sel:WORD_1 src1_sel:DWORD
	v_add_f16_e32 v74, v96, v95
	v_mul_f16_e32 v96, 0xbbc4, v18
	v_mul_f16_e32 v95, 0x388b, v32
	v_sub_f16_e32 v48, v67, v48
	v_fmamk_f16 v105, v44, 0x388b, v104
	v_add_f16_e32 v54, v59, v54
	v_sub_f16_e32 v52, v96, v52
	v_fma_f16 v59, v23, 0xbbc4, -v91
	v_add_f16_e32 v48, v48, v4
	v_add_f16_e32 v67, v77, v95
	;; [unrolled: 1-line block ×3, first 2 shown]
	v_mul_f16_e32 v94, 0xb5ac, v30
	v_add_f16_e32 v59, v59, v74
	v_add_f16_e32 v48, v52, v48
	v_mul_f16_e32 v52, 0x388b, v26
	v_mul_f16_e32 v74, 0xb5ac, v19
	v_add_f16_e32 v54, v67, v54
	v_mul_f16_e32 v67, 0xb9fd, v44
	v_add_f16_e32 v47, v47, v94
	v_add_f16_e32 v45, v45, v52
	v_sub_f16_e32 v57, v74, v57
	v_mov_b32_e32 v74, 0x3a95
	v_add_f16_e32 v52, v80, v67
	v_mul_f16_e32 v80, 0xbbc4, v29
	v_add_f16_sdwa v45, v45, v4 dst_sel:DWORD dst_unused:UNUSED_PAD src0_sel:DWORD src1_sel:WORD_1
	v_mul_f16_e32 v67, 0x3b15, v21
	v_mul_f16_sdwa v74, v24, v74 dst_sel:DWORD dst_unused:UNUSED_PAD src0_sel:WORD_1 src1_sel:DWORD
	v_add_f16_e32 v48, v57, v48
	v_add_f16_e32 v52, v52, v54
	;; [unrolled: 1-line block ×4, first 2 shown]
	v_mul_f16_e32 v51, 0xb9fd, v31
	v_fma_f16 v57, v27, 0x388b, -v74
	v_sub_f16_e32 v56, v67, v56
	v_mul_f16_e32 v54, 0xb9fd, v27
	v_add_f16_e32 v45, v47, v45
	v_add_f16_e32 v47, v53, v51
	v_mul_f16_e32 v51, 0x2fb7, v32
	v_add_f16_e32 v57, v57, v59
	v_mul_f16_e32 v59, 0x388b, v23
	v_add_f16_e32 v48, v56, v48
	v_add_f16_e32 v45, v47, v45
	;; [unrolled: 1-line block ×3, first 2 shown]
	v_mul_f16_e32 v55, 0x388b, v18
	v_sub_f16_e32 v53, v59, v58
	v_mul_f16_e32 v51, 0x3b15, v44
	v_fma_f16 v58, v26, 0xb9fd, -v82
	v_add_f16_e32 v45, v47, v45
	v_mul_f16_e32 v47, 0x3b15, v15
	v_add_f16_e32 v48, v53, v48
	v_sub_f16_e32 v53, v54, v75
	v_alignbit_b32 v54, v4, v4, 16
	v_sub_f16_e32 v39, v55, v39
	v_sub_f16_e32 v33, v47, v33
	v_add_f16_e32 v51, v70, v51
	v_add_f16_e32 v48, v53, v48
	v_mul_f16_e32 v53, 0x2fb7, v19
	v_pk_add_f16 v5, v5, v54 op_sel:[0,1] op_sel_hi:[1,0]
	v_add_f16_e32 v33, v33, v4
	v_mul_f16_e32 v47, 0xb5ac, v21
	v_add_f16_e32 v45, v51, v45
	v_sub_f16_e32 v34, v53, v34
	v_fma_f16 v53, v30, 0x2fb7, -v83
	v_add_f16_e32 v33, v39, v33
	v_add_f16_sdwa v39, v58, v4 dst_sel:DWORD dst_unused:UNUSED_PAD src0_sel:DWORD src1_sel:WORD_1
	v_pk_add_f16 v5, v10, v5
	v_mul_f16_e32 v51, 0xb9fd, v23
	v_fmac_f16_e32 v81, 0xb9fd, v15
	v_add_f16_e32 v33, v34, v33
	v_sub_f16_e32 v34, v47, v43
	v_add_f16_e32 v39, v53, v39
	v_fma_f16 v43, v29, 0x388b, -v85
	v_fma_f16 v26, v26, 0xb5ac, -v93
	v_pk_add_f16 v5, v11, v5
	v_mul_f16_e32 v55, 0xbbc4, v27
	v_add_f16_e32 v33, v34, v33
	v_sub_f16_e32 v34, v51, v46
	v_add_f16_e32 v39, v43, v39
	v_fma_f16 v43, v31, 0xbbc4, -v87
	v_add_f16_e32 v46, v81, v4
	v_fmac_f16_e32 v84, 0x2fb7, v18
	v_add_f16_sdwa v26, v26, v4 dst_sel:DWORD dst_unused:UNUSED_PAD src0_sel:DWORD src1_sel:WORD_1
	v_fma_f16 v30, v30, 0xb9fd, -v97
	v_pk_add_f16 v5, v8, v5
	v_add_f16_e32 v33, v34, v33
	v_sub_f16_e32 v34, v55, v49
	v_add_f16_e32 v39, v43, v39
	v_fma_f16 v43, v32, 0x3b15, -v89
	v_add_f16_e32 v46, v84, v46
	v_fmac_f16_e32 v79, 0x388b, v19
	v_add_f16_e32 v10, v30, v26
	v_fma_f16 v26, v29, 0x3b15, -v98
	v_pk_add_f16 v5, v9, v5
	v_add_f16_e32 v33, v34, v33
	v_add_f16_e32 v34, v43, v39
	;; [unrolled: 1-line block ×3, first 2 shown]
	v_fmac_f16_e32 v90, 0xbbc4, v21
	v_add_f16_e32 v10, v26, v10
	v_fma_f16 v11, v31, 0x2fb7, -v100
	v_pk_add_f16 v5, v6, v5
	v_fmac_f16_e32 v92, 0x3b15, v23
	v_add_f16_e32 v39, v90, v39
	v_bfi_b32 v56, 0xffff, v66, v62
	v_add_f16_e32 v10, v11, v10
	v_fma_f16 v11, v32, 0xbbc4, -v102
	v_pk_add_f16 v5, v7, v5
	v_add_f16_e32 v8, v92, v39
	v_fmac_f16_e32 v101, 0xb5ac, v27
	v_fma_f16 v6, v44, 0x388b, -v104
	v_add_f16_e32 v9, v11, v10
	v_pk_add_f16 v2, v2, v5
	v_bfi_b32 v59, 0xffff, v61, v60
	v_add_f16_e32 v7, v101, v8
	v_mov_b32_e32 v5, 2
	v_add_f16_e32 v6, v6, v9
	v_pk_add_f16 v8, v56, v54
	v_pk_mul_f16 v9, 0xbbc4, v15 op_sel_hi:[0,1]
	v_pk_add_f16 v2, v3, v2
	v_lshlrev_b32_sdwa v3, v5, v40 dst_sel:DWORD dst_unused:UNUSED_PAD src0_sel:DWORD src1_sel:WORD_0
	v_pk_mul_f16 v11, 0x3b15, v18 op_sel_hi:[0,1]
	v_pk_add_f16 v5, v59, v8
	v_pk_fma_f16 v8, 0xb3a8, v13, v9 op_sel:[0,0,1] op_sel_hi:[0,1,0] neg_lo:[0,1,0] neg_hi:[0,1,0]
	v_pk_add_f16 v0, v0, v2
	v_pk_fma_f16 v2, 0xb3a8, v13, v9 op_sel:[0,0,1] op_sel_hi:[0,1,0]
	v_fmac_f16_e32 v78, 0xb5ac, v15
	v_bfi_b32 v60, 0xffff, v65, v63
	v_pk_add_f16 v8, v8, v54
	v_pk_fma_f16 v9, 0x3770, v14, v11 op_sel:[0,0,1] op_sel_hi:[0,1,0] neg_lo:[0,1,0] neg_hi:[0,1,0]
	v_pk_mul_f16 v13, 0xb9fd, v19 op_sel_hi:[0,1]
	v_pk_add_f16 v2, v2, v54
	v_pk_fma_f16 v11, 0x3770, v14, v11 op_sel:[0,0,1] op_sel_hi:[0,1,0]
	v_add_f16_e32 v4, v78, v4
	v_fmac_f16_e32 v103, 0xb9fd, v18
	v_bfi_b32 v58, 0xffff, v68, v64
	v_pk_add_f16 v5, v60, v5
	v_pk_add_f16 v8, v9, v8
	v_pk_fma_f16 v9, 0xb94e, v17, v13 op_sel:[0,0,1] op_sel_hi:[0,1,0] neg_lo:[0,1,0] neg_hi:[0,1,0]
	v_pk_mul_f16 v14, 0x388b, v21 op_sel_hi:[0,1]
	v_pk_add_f16 v2, v11, v2
	v_pk_fma_f16 v11, 0xb94e, v17, v13 op_sel:[0,0,1] op_sel_hi:[0,1,0]
	v_add_f16_e32 v4, v103, v4
	v_fmac_f16_e32 v76, 0x3b15, v19
	v_bfi_b32 v61, 0xffff, v72, v69
	v_pk_add_f16 v5, v58, v5
	;; [unrolled: 9-line block ×3, first 2 shown]
	v_pk_add_f16 v8, v9, v8
	v_pk_fma_f16 v9, 0xbb7b, v22, v13 op_sel:[0,0,1] op_sel_hi:[0,1,0] neg_lo:[0,1,0] neg_hi:[0,1,0]
	v_pk_mul_f16 v14, 0x2fb7, v27 op_sel_hi:[0,1]
	v_pk_add_f16 v2, v11, v2
	v_pk_fma_f16 v11, 0xbb7b, v22, v13 op_sel:[0,0,1] op_sel_hi:[0,1,0]
	v_add_f16_e32 v4, v50, v4
	v_fmac_f16_e32 v91, 0xbbc4, v23
	v_pk_add_f16 v5, v47, v5
	v_pk_add_f16 v8, v9, v8
	v_pk_fma_f16 v9, 0x3bf1, v24, v14 op_sel:[0,0,1] op_sel_hi:[0,1,0] neg_lo:[0,1,0] neg_hi:[0,1,0]
	v_pk_add_f16 v2, v11, v2
	v_pk_fma_f16 v11, 0x3bf1, v24, v14 op_sel:[0,0,1] op_sel_hi:[0,1,0]
	v_fma_f16 v43, v44, 0xb5ac, -v99
	v_add_f16_e32 v4, v91, v4
	v_fmac_f16_e32 v74, 0x388b, v27
	v_pk_add_f16 v0, v1, v0
	v_alignbit_b32 v1, v45, v5, 16
	v_pack_b32_f16 v5, v33, v5
	v_pack_b32_f16 v13, v48, v52
	v_pack_b32_f16 v14, v57, v77
	v_pk_add_f16 v8, v9, v8
	v_pk_add_f16 v2, v11, v2
	v_add_f16_e32 v10, v43, v34
	v_add_f16_e32 v4, v74, v4
	v_pk_add_f16 v0, v12, v0
	ds_write2_b32 v3, v5, v1 offset0:1 offset1:2
	ds_write2_b32 v3, v13, v14 offset0:3 offset1:4
	v_pack_b32_f16 v1, v88, v86
	v_alignbit_b32 v5, v8, v2, 16
	v_alignbit_b32 v2, v2, v8, 16
	v_pack_b32_f16 v4, v4, v6
	v_pack_b32_f16 v6, v7, v10
	v_perm_b32 v7, v28, v35, 0x5040100
	v_perm_b32 v8, v36, v25, 0x5040100
	;; [unrolled: 1-line block ×3, first 2 shown]
	ds_write2_b32 v3, v0, v1 offset1:5
	ds_write2_b32 v3, v2, v5 offset0:6 offset1:7
	ds_write2_b32 v3, v6, v4 offset0:8 offset1:9
	;; [unrolled: 1-line block ×3, first 2 shown]
	ds_write_b32 v3, v9 offset:48
.LBB0_7:
	s_or_b32 exec_lo, exec_lo, s4
	v_and_b32_e32 v8, 0xff, v38
	v_mov_b32_e32 v1, 0x4ec5
	v_add_co_u32 v17, s4, 0xc3, v38
	v_mov_b32_e32 v26, 2
	v_mul_lo_u16 v0, 0x4f, v8
	v_add_co_ci_u32_e64 v18, null, 0, 0, s4
	s_load_dwordx4 s[4:7], s[0:1], 0x0
	s_waitcnt lgkmcnt(0)
	v_lshrrev_b16 v21, 10, v0
	v_mul_u32_u24_sdwa v0, v17, v1 dst_sel:DWORD dst_unused:UNUSED_PAD src0_sel:WORD_0 src1_sel:DWORD
	s_barrier
	buffer_gl0_inv
	v_lshlrev_b32_sdwa v39, v26, v38 dst_sel:DWORD dst_unused:UNUSED_PAD src0_sel:DWORD src1_sel:WORD_0
	v_mul_lo_u16 v1, v21, 13
	v_lshrrev_b32_e32 v22, 18, v0
	v_mul_lo_u16 v10, 0xfd, v8
	v_mov_b32_e32 v34, 0x41
	v_add_nc_u32_e32 v27, 0x600, v39
	v_sub_nc_u16 v0, v38, v1
	v_mul_lo_u16 v1, v22, 13
	v_add_nc_u32_e32 v29, 0xc00, v39
	v_add_nc_u32_e32 v30, 0x1200, v39
	;; [unrolled: 1-line block ×3, first 2 shown]
	v_and_b32_e32 v23, 0xff, v0
	v_sub_nc_u16 v24, v17, v1
	ds_read2_b32 v[8:9], v39 offset1:195
	v_lshrrev_b16 v32, 14, v10
	v_mul_u32_u24_sdwa v21, v21, v34 dst_sel:DWORD dst_unused:UNUSED_PAD src0_sel:WORD_0 src1_sel:DWORD
	v_lshlrev_b32_e32 v0, 4, v23
	v_lshlrev_b16 v1, 2, v24
	v_mad_u16 v22, 0x41, v22, v24
	v_mul_lo_u16 v33, 0x41, v32
	v_add_lshl_u32 v44, v21, v23, 2
	global_load_dwordx4 v[4:7], v0, s[2:3]
	v_lshlrev_b32_sdwa v0, v26, v1 dst_sel:DWORD dst_unused:UNUSED_PAD src0_sel:DWORD src1_sel:WORD_0
	v_lshlrev_b32_sdwa v43, v26, v22 dst_sel:DWORD dst_unused:UNUSED_PAD src0_sel:DWORD src1_sel:WORD_0
	v_sub_nc_u16 v33, v38, v33
	v_cmp_gt_u16_e64 s0, 0x41, v38
	global_load_dwordx4 v[0:3], v0, s[2:3]
	ds_read2_b32 v[10:11], v27 offset0:6 offset1:201
	ds_read2_b32 v[12:13], v29 offset0:12 offset1:207
	;; [unrolled: 1-line block ×4, first 2 shown]
	v_and_b32_e32 v33, 0xff, v33
	s_waitcnt vmcnt(0) lgkmcnt(0)
	s_barrier
	buffer_gl0_inv
	v_lshrrev_b32_e32 v24, 16, v8
	v_lshrrev_b32_e32 v34, 16, v9
	v_mad_u64_u32 v[21:22], null, v33, 36, s[2:3]
	v_lshrrev_b32_e32 v23, 16, v10
	v_lshrrev_b32_e32 v26, 16, v12
	;; [unrolled: 1-line block ×8, first 2 shown]
	v_mul_f16_sdwa v51, v23, v4 dst_sel:DWORD dst_unused:UNUSED_PAD src0_sel:DWORD src1_sel:WORD_1
	v_mul_f16_sdwa v52, v10, v4 dst_sel:DWORD dst_unused:UNUSED_PAD src0_sel:DWORD src1_sel:WORD_1
	;; [unrolled: 1-line block ×16, first 2 shown]
	v_fma_f16 v10, v10, v4, -v51
	v_fmac_f16_e32 v52, v23, v4
	v_fma_f16 v12, v12, v5, -v53
	v_fmac_f16_e32 v54, v26, v5
	;; [unrolled: 2-line block ×8, first 2 shown]
	v_add_f16_e32 v23, v8, v10
	v_add_f16_e32 v26, v12, v14
	v_sub_f16_e32 v47, v10, v12
	v_sub_f16_e32 v48, v19, v14
	v_add_f16_e32 v49, v10, v19
	v_add_f16_e32 v53, v24, v52
	;; [unrolled: 1-line block ×4, first 2 shown]
	v_sub_f16_e32 v45, v52, v58
	v_sub_f16_e32 v50, v12, v10
	;; [unrolled: 1-line block ×7, first 2 shown]
	v_add_f16_e32 v67, v9, v11
	v_add_f16_e32 v68, v13, v15
	;; [unrolled: 1-line block ×6, first 2 shown]
	v_sub_f16_e32 v10, v10, v19
	v_sub_f16_e32 v57, v12, v14
	v_add_f16_e32 v12, v23, v12
	v_fma_f16 v23, -0.5, v26, v8
	v_add_f16_e32 v26, v47, v48
	v_fma_f16 v8, -0.5, v49, v8
	;; [unrolled: 2-line block ×3, first 2 shown]
	v_sub_f16_e32 v46, v54, v56
	v_fmac_f16_e32 v24, -0.5, v63
	v_sub_f16_e32 v69, v60, v66
	v_sub_f16_e32 v71, v11, v13
	;; [unrolled: 1-line block ×5, first 2 shown]
	v_add_f16_e32 v47, v50, v51
	v_add_f16_e32 v50, v59, v61
	;; [unrolled: 1-line block ×4, first 2 shown]
	v_fma_f16 v52, -0.5, v68, v9
	v_add_f16_e32 v55, v76, v62
	v_fma_f16 v59, -0.5, v77, v34
	v_sub_f16_e32 v70, v62, v64
	v_fmac_f16_e32 v9, -0.5, v73
	v_fmac_f16_e32 v34, -0.5, v81
	v_add_f16_e32 v12, v12, v14
	v_fmamk_f16 v14, v45, 0x3b9c, v23
	v_add_f16_e32 v48, v48, v56
	v_fmamk_f16 v56, v10, 0xbb9c, v49
	v_sub_f16_e32 v79, v60, v62
	v_sub_f16_e32 v60, v62, v60
	v_fmamk_f16 v62, v46, 0xbb9c, v8
	v_fmac_f16_e32 v8, 0x3b9c, v46
	v_fmamk_f16 v63, v57, 0x3b9c, v24
	v_fmac_f16_e32 v24, 0xbb9c, v57
	v_fmac_f16_e32 v23, 0xbb9c, v45
	;; [unrolled: 1-line block ×3, first 2 shown]
	v_sub_f16_e32 v72, v20, v15
	v_sub_f16_e32 v75, v15, v20
	;; [unrolled: 1-line block ×4, first 2 shown]
	v_add_f16_e32 v13, v13, v15
	v_fmamk_f16 v15, v69, 0x3b9c, v52
	v_add_f16_e32 v55, v55, v64
	v_fmamk_f16 v64, v11, 0xbb9c, v59
	v_fmamk_f16 v65, v70, 0xbb9c, v9
	v_fmac_f16_e32 v9, 0x3b9c, v70
	v_fmamk_f16 v67, v78, 0x3b9c, v34
	v_fmac_f16_e32 v34, 0xbb9c, v78
	v_fmac_f16_e32 v52, 0xbb9c, v69
	;; [unrolled: 1-line block ×11, first 2 shown]
	v_add_f16_e32 v53, v71, v72
	v_add_f16_e32 v61, v79, v80
	v_fmac_f16_e32 v15, 0x38b4, v70
	v_fmac_f16_e32 v64, 0xb8b4, v78
	v_add_f16_e32 v54, v74, v75
	v_add_f16_e32 v60, v60, v82
	v_fmac_f16_e32 v65, 0x38b4, v69
	v_fmac_f16_e32 v9, 0xb8b4, v69
	v_fmac_f16_e32 v67, 0xb8b4, v11
	v_fmac_f16_e32 v34, 0x38b4, v11
	v_add_f16_e32 v12, v12, v19
	v_add_f16_e32 v19, v48, v58
	v_fmac_f16_e32 v52, 0xb8b4, v70
	v_fmac_f16_e32 v59, 0x38b4, v78
	v_fmac_f16_e32 v14, 0x34f2, v26
	v_fmac_f16_e32 v56, 0x34f2, v50
	v_add_f16_e32 v10, v13, v20
	v_add_f16_e32 v13, v55, v66
	v_fmac_f16_e32 v62, 0x34f2, v47
	v_fmac_f16_e32 v8, 0x34f2, v47
	v_fmac_f16_e32 v63, 0x34f2, v51
	v_fmac_f16_e32 v24, 0x34f2, v51
	;; [unrolled: 1-line block ×12, first 2 shown]
	v_pack_b32_f16 v11, v12, v19
	v_pack_b32_f16 v12, v14, v56
	;; [unrolled: 1-line block ×10, first 2 shown]
	ds_write2_b32 v44, v11, v12 offset1:13
	ds_write2_b32 v44, v13, v8 offset0:26 offset1:39
	ds_write_b32 v44, v14 offset:208
	ds_write2_b32 v43, v10, v15 offset1:13
	ds_write2_b32 v43, v19, v9 offset0:26 offset1:39
	ds_write_b32 v43, v20 offset:208
	s_waitcnt lgkmcnt(0)
	s_barrier
	buffer_gl0_inv
	s_clause 0x2
	global_load_dwordx4 v[12:15], v[21:22], off offset:208
	global_load_dwordx4 v[8:11], v[21:22], off offset:224
	global_load_dword v46, v[21:22], off offset:240
	v_mov_b32_e32 v26, 0x28a
	ds_read2_b32 v[19:20], v39 offset1:195
	ds_read2_b32 v[21:22], v27 offset0:6 offset1:201
	ds_read2_b32 v[23:24], v29 offset0:12 offset1:207
	v_add_nc_u32_e32 v47, 0xa00, v39
	v_add_nc_u32_e32 v48, 0x1400, v39
	v_mul_u32_u24_sdwa v32, v32, v26 dst_sel:DWORD dst_unused:UNUSED_PAD src0_sel:WORD_0 src1_sel:DWORD
	ds_read2_b32 v[26:27], v30 offset0:18 offset1:213
	ds_read2_b32 v[29:30], v31 offset0:24 offset1:219
	s_waitcnt vmcnt(0) lgkmcnt(0)
	s_barrier
	buffer_gl0_inv
	v_add_lshl_u32 v45, v32, v33, 2
	v_add_nc_u32_e32 v31, 0x400, v45
	v_add_nc_u32_e32 v32, 0x800, v45
	v_lshrrev_b32_e32 v34, 16, v20
	v_lshrrev_b32_e32 v49, 16, v21
	;; [unrolled: 1-line block ×10, first 2 shown]
	v_mul_f16_sdwa v57, v34, v12 dst_sel:DWORD dst_unused:UNUSED_PAD src0_sel:DWORD src1_sel:WORD_1
	v_mul_f16_sdwa v58, v20, v12 dst_sel:DWORD dst_unused:UNUSED_PAD src0_sel:DWORD src1_sel:WORD_1
	;; [unrolled: 1-line block ×18, first 2 shown]
	v_fma_f16 v20, v20, v12, -v57
	v_fmac_f16_e32 v58, v34, v12
	v_fma_f16 v21, v21, v13, -v59
	v_fmac_f16_e32 v60, v49, v13
	;; [unrolled: 2-line block ×9, first 2 shown]
	v_add_f16_e32 v34, v19, v21
	v_add_f16_e32 v49, v23, v26
	v_sub_f16_e32 v52, v21, v23
	v_sub_f16_e32 v53, v29, v26
	;; [unrolled: 1-line block ×4, first 2 shown]
	v_add_f16_e32 v57, v33, v60
	v_sub_f16_e32 v63, v60, v64
	v_sub_f16_e32 v65, v72, v68
	v_add_f16_e32 v71, v20, v22
	v_add_f16_e32 v73, v24, v27
	;; [unrolled: 1-line block ×6, first 2 shown]
	v_sub_f16_e32 v50, v60, v72
	v_sub_f16_e32 v51, v64, v68
	v_add_f16_e32 v54, v21, v29
	v_add_f16_e32 v59, v64, v68
	v_sub_f16_e32 v61, v23, v26
	v_add_f16_e32 v67, v60, v72
	v_sub_f16_e32 v60, v64, v60
	v_sub_f16_e32 v75, v62, v74
	;; [unrolled: 1-line block ×6, first 2 shown]
	v_add_f16_e32 v23, v34, v23
	v_fma_f16 v34, -0.5, v49, v19
	v_add_f16_e32 v49, v52, v53
	v_add_f16_e32 v52, v55, v56
	v_add_f16_e32 v53, v57, v64
	v_add_f16_e32 v55, v63, v65
	v_add_f16_e32 v24, v71, v24
	v_fma_f16 v57, -0.5, v73, v20
	v_add_f16_e32 v63, v82, v66
	v_fma_f16 v64, -0.5, v83, v58
	v_sub_f16_e32 v69, v68, v72
	v_sub_f16_e32 v76, v66, v70
	v_fmac_f16_e32 v20, -0.5, v79
	v_fmac_f16_e32 v58, -0.5, v87
	v_sub_f16_e32 v78, v30, v27
	v_sub_f16_e32 v81, v27, v30
	;; [unrolled: 1-line block ×5, first 2 shown]
	v_fmac_f16_e32 v19, -0.5, v54
	v_fma_f16 v54, -0.5, v59, v33
	v_fmac_f16_e32 v33, -0.5, v67
	v_add_f16_e32 v24, v24, v27
	v_fmamk_f16 v27, v75, 0x3b9c, v57
	v_add_f16_e32 v63, v63, v70
	v_fmamk_f16 v70, v22, 0xbb9c, v64
	v_sub_f16_e32 v62, v66, v62
	v_add_f16_e32 v56, v60, v69
	v_fmamk_f16 v69, v76, 0xbb9c, v20
	v_fmac_f16_e32 v20, 0x3b9c, v76
	v_fmamk_f16 v71, v84, 0x3b9c, v58
	v_fmac_f16_e32 v58, 0xbb9c, v84
	v_sub_f16_e32 v21, v21, v29
	v_fmac_f16_e32 v57, 0xbb9c, v75
	v_fmac_f16_e32 v64, 0x3b9c, v22
	v_add_f16_e32 v59, v77, v78
	v_add_f16_e32 v65, v85, v86
	v_add_f16_e32 v23, v23, v26
	v_add_f16_e32 v53, v53, v68
	v_fmamk_f16 v68, v61, 0x3b9c, v33
	v_fmac_f16_e32 v33, 0xbb9c, v61
	v_fmac_f16_e32 v27, 0x38b4, v76
	;; [unrolled: 1-line block ×3, first 2 shown]
	v_add_f16_e32 v60, v80, v81
	v_add_f16_e32 v62, v62, v88
	v_fmamk_f16 v26, v50, 0x3b9c, v34
	v_fmac_f16_e32 v34, 0xbb9c, v50
	v_fmamk_f16 v66, v51, 0xbb9c, v19
	v_fmac_f16_e32 v19, 0x3b9c, v51
	v_fmac_f16_e32 v69, 0x38b4, v75
	;; [unrolled: 1-line block ×5, first 2 shown]
	v_fmamk_f16 v67, v21, 0xbb9c, v54
	v_fmac_f16_e32 v54, 0x3b9c, v21
	v_fmac_f16_e32 v57, 0xb8b4, v76
	;; [unrolled: 1-line block ×3, first 2 shown]
	v_add_f16_e32 v23, v23, v29
	v_add_f16_e32 v29, v53, v72
	v_fmac_f16_e32 v68, 0xb8b4, v21
	v_fmac_f16_e32 v33, 0x38b4, v21
	v_add_f16_e32 v21, v24, v30
	v_add_f16_e32 v24, v63, v74
	v_fmac_f16_e32 v27, 0x34f2, v59
	v_fmac_f16_e32 v70, 0x34f2, v65
	;; [unrolled: 1-line block ×14, first 2 shown]
	v_add_f16_e32 v22, v23, v21
	v_add_f16_e32 v30, v29, v24
	v_sub_f16_e32 v21, v23, v21
	v_sub_f16_e32 v23, v29, v24
	v_mul_f16_e32 v24, 0x38b4, v70
	v_mul_f16_e32 v51, 0xb8b4, v27
	v_fmac_f16_e32 v26, 0x34f2, v49
	v_fmac_f16_e32 v34, 0x34f2, v49
	;; [unrolled: 1-line block ×4, first 2 shown]
	v_mul_f16_e32 v29, 0x3b9c, v71
	v_mul_f16_e32 v49, 0x34f2, v20
	;; [unrolled: 1-line block ×4, first 2 shown]
	v_fmac_f16_e32 v67, 0x34f2, v55
	v_fmac_f16_e32 v54, 0x34f2, v55
	v_mul_f16_e32 v50, 0x3a79, v57
	v_mul_f16_e32 v55, 0x3a79, v64
	v_fmac_f16_e32 v24, 0x3a79, v27
	v_fmac_f16_e32 v51, 0x3a79, v70
	;; [unrolled: 1-line block ×4, first 2 shown]
	v_pack_b32_f16 v21, v21, v23
	v_fmac_f16_e32 v29, 0x34f2, v69
	v_fma_f16 v23, v58, 0x3b9c, -v49
	v_fmac_f16_e32 v52, 0x34f2, v71
	v_fma_f16 v20, v20, 0xbb9c, -v53
	v_pack_b32_f16 v22, v22, v30
	v_fma_f16 v27, v64, 0x38b4, -v50
	v_fma_f16 v30, v57, 0xb8b4, -v55
	v_add_f16_e32 v49, v26, v24
	v_add_f16_e32 v56, v67, v51
	;; [unrolled: 1-line block ×8, first 2 shown]
	v_sub_f16_e32 v24, v26, v24
	v_sub_f16_e32 v29, v66, v29
	;; [unrolled: 1-line block ×8, first 2 shown]
	v_pack_b32_f16 v30, v49, v56
	v_pack_b32_f16 v33, v50, v57
	;; [unrolled: 1-line block ×8, first 2 shown]
	ds_write2_b32 v45, v22, v30 offset1:65
	ds_write2_b32 v45, v33, v34 offset0:130 offset1:195
	ds_write2_b32 v31, v49, v21 offset0:4 offset1:69
	;; [unrolled: 1-line block ×4, first 2 shown]
	s_waitcnt lgkmcnt(0)
	s_barrier
	buffer_gl0_inv
	ds_read2_b32 v[29:30], v39 offset1:195
	ds_read2_b32 v[33:34], v47 offset0:10 offset1:205
	ds_read2_b32 v[31:32], v48 offset0:20 offset1:215
	ds_read_b32 v27, v39 offset:1560
	ds_read_b32 v50, v39 offset:4160
	;; [unrolled: 1-line block ×3, first 2 shown]
	s_and_saveexec_b32 s1, s0
	s_cbranch_execz .LBB0_9
; %bb.8:
	ds_read_b32 v26, v39 offset:2340
	ds_read_b32 v25, v39 offset:4940
	;; [unrolled: 1-line block ×3, first 2 shown]
	s_waitcnt lgkmcnt(2)
	v_lshrrev_b32_e32 v51, 16, v26
	s_waitcnt lgkmcnt(1)
	v_lshrrev_b32_e32 v36, 16, v25
	;; [unrolled: 2-line block ×3, first 2 shown]
.LBB0_9:
	s_or_b32 exec_lo, exec_lo, s1
	v_lshlrev_b32_e32 v21, 3, v38
	v_lshlrev_b64 v[17:18], 3, v[17:18]
	s_waitcnt lgkmcnt(3)
	v_lshrrev_b32_e32 v56, 16, v31
	v_lshrrev_b32_e32 v57, 16, v34
	;; [unrolled: 1-line block ×3, first 2 shown]
	v_add_co_u32 v19, s1, s2, v21
	v_add_co_ci_u32_e64 v20, null, s3, 0, s1
	v_add_co_u32 v22, s1, s2, v17
	v_add_co_ci_u32_e64 v23, s1, s3, v18, s1
	v_add_co_u32 v17, s1, 0x800, v19
	v_add_co_ci_u32_e64 v18, s1, 0, v20, s1
	v_add_co_u32 v19, s1, 0x800, v22
	v_add_nc_u32_e32 v21, 0xc30, v21
	v_add_co_ci_u32_e64 v20, s1, 0, v23, s1
	v_add_co_u32 v22, s1, 0x249, v38
	v_add_co_ci_u32_e64 v52, null, 0, 0, s1
	s_clause 0x1
	global_load_dwordx2 v[23:24], v[17:18], off offset:500
	global_load_dwordx2 v[19:20], v[19:20], off offset:500
	v_add_co_u32 v17, s1, s2, v21
	v_add_co_ci_u32_e64 v18, null, s3, 0, s1
	v_add_co_u32 v21, s1, 0xffffffbf, v38
	v_add_co_ci_u32_e64 v53, null, 0, -1, s1
	v_add_co_u32 v17, s1, 0x800, v17
	v_add_co_ci_u32_e64 v18, s1, 0, v18, s1
	v_cndmask_b32_e64 v53, v53, v52, s0
	v_cndmask_b32_e64 v52, v21, v22, s0
	s_waitcnt lgkmcnt(1)
	v_lshrrev_b32_e32 v59, 16, v50
	global_load_dwordx2 v[21:22], v[17:18], off offset:500
	s_waitcnt lgkmcnt(0)
	v_lshrrev_b32_e32 v60, 16, v49
	v_lshrrev_b32_e32 v55, 16, v29
	v_lshlrev_b64 v[17:18], 3, v[52:53]
	v_lshrrev_b32_e32 v52, 16, v33
	v_lshrrev_b32_e32 v54, 16, v30
	;; [unrolled: 1-line block ×3, first 2 shown]
	v_add_co_u32 v17, s1, s2, v17
	v_add_co_ci_u32_e64 v18, s1, s3, v18, s1
	v_add_co_u32 v17, s1, 0x800, v17
	v_add_co_ci_u32_e64 v18, s1, 0, v18, s1
	global_load_dwordx2 v[17:18], v[17:18], off offset:500
	s_waitcnt vmcnt(3)
	v_mul_f16_sdwa v61, v52, v23 dst_sel:DWORD dst_unused:UNUSED_PAD src0_sel:DWORD src1_sel:WORD_1
	v_mul_f16_sdwa v62, v33, v23 dst_sel:DWORD dst_unused:UNUSED_PAD src0_sel:DWORD src1_sel:WORD_1
	;; [unrolled: 1-line block ×4, first 2 shown]
	s_waitcnt vmcnt(2)
	v_mul_f16_sdwa v65, v57, v19 dst_sel:DWORD dst_unused:UNUSED_PAD src0_sel:DWORD src1_sel:WORD_1
	v_mul_f16_sdwa v66, v34, v19 dst_sel:DWORD dst_unused:UNUSED_PAD src0_sel:DWORD src1_sel:WORD_1
	;; [unrolled: 1-line block ×4, first 2 shown]
	v_fma_f16 v33, v33, v23, -v61
	v_fmac_f16_e32 v62, v52, v23
	v_fma_f16 v31, v31, v24, -v63
	v_fmac_f16_e32 v64, v56, v24
	;; [unrolled: 2-line block ×4, first 2 shown]
	v_sub_f16_e32 v58, v62, v64
	s_waitcnt vmcnt(1)
	v_mul_f16_sdwa v52, v59, v21 dst_sel:DWORD dst_unused:UNUSED_PAD src0_sel:DWORD src1_sel:WORD_1
	v_mul_f16_sdwa v56, v50, v21 dst_sel:DWORD dst_unused:UNUSED_PAD src0_sel:DWORD src1_sel:WORD_1
	;; [unrolled: 1-line block ×4, first 2 shown]
	v_add_f16_e32 v57, v33, v31
	v_fma_f16 v50, v50, v21, -v52
	v_fmac_f16_e32 v56, v59, v21
	v_fma_f16 v49, v49, v22, -v61
	v_fmac_f16_e32 v63, v60, v22
	v_add_f16_e32 v52, v29, v33
	v_add_f16_e32 v59, v55, v62
	;; [unrolled: 1-line block ×3, first 2 shown]
	v_sub_f16_e32 v61, v33, v31
	v_add_f16_e32 v70, v30, v34
	v_add_f16_e32 v71, v34, v32
	v_sub_f16_e32 v72, v66, v68
	v_add_f16_e32 v73, v54, v66
	v_add_f16_e32 v66, v66, v68
	;; [unrolled: 1-line block ×5, first 2 shown]
	s_waitcnt vmcnt(0)
	v_mul_f16_sdwa v62, v36, v17 dst_sel:DWORD dst_unused:UNUSED_PAD src0_sel:DWORD src1_sel:WORD_1
	v_mul_f16_sdwa v65, v25, v17 dst_sel:DWORD dst_unused:UNUSED_PAD src0_sel:DWORD src1_sel:WORD_1
	;; [unrolled: 1-line block ×4, first 2 shown]
	v_add_f16_e32 v64, v53, v56
	v_fma_f16 v25, v25, v17, -v62
	v_fmac_f16_e32 v65, v36, v17
	v_fma_f16 v67, v35, v18, -v67
	v_fmac_f16_e32 v69, v28, v18
	v_add_f16_e32 v75, v56, v63
	v_sub_f16_e32 v74, v34, v32
	v_fma_f16 v33, -0.5, v57, v29
	v_fmac_f16_e32 v55, -0.5, v60
	v_add_f16_e32 v29, v27, v50
	v_sub_f16_e32 v60, v56, v63
	v_add_f16_e32 v34, v70, v32
	v_fmac_f16_e32 v30, -0.5, v71
	v_add_f16_e32 v57, v73, v68
	v_fmac_f16_e32 v54, -0.5, v66
	v_fmac_f16_e32 v27, -0.5, v59
	v_add_f16_e32 v56, v64, v63
	v_add_f16_e32 v59, v25, v67
	v_sub_f16_e32 v63, v65, v69
	v_add_f16_e32 v64, v51, v65
	v_add_f16_e32 v65, v65, v69
	v_sub_f16_e32 v50, v50, v49
	v_fmac_f16_e32 v53, -0.5, v75
	v_fmamk_f16 v32, v58, 0x3aee, v33
	v_fmac_f16_e32 v33, 0xbaee, v58
	v_fmamk_f16 v58, v61, 0xbaee, v55
	v_fmac_f16_e32 v55, 0x3aee, v61
	v_add_f16_e32 v35, v29, v49
	v_pack_b32_f16 v49, v31, v52
	v_fmamk_f16 v29, v72, 0x3aee, v30
	v_fmamk_f16 v61, v74, 0xbaee, v54
	v_add_f16_e32 v28, v26, v25
	v_sub_f16_e32 v66, v25, v67
	v_pack_b32_f16 v25, v34, v57
	v_fmac_f16_e32 v26, -0.5, v59
	v_fmac_f16_e32 v51, -0.5, v65
	v_fmac_f16_e32 v30, 0xbaee, v72
	v_fmac_f16_e32 v54, 0x3aee, v74
	v_fmamk_f16 v36, v60, 0x3aee, v27
	v_fmamk_f16 v62, v50, 0xbaee, v53
	v_fmac_f16_e32 v27, 0xbaee, v60
	v_fmac_f16_e32 v53, 0x3aee, v50
	v_pack_b32_f16 v50, v32, v58
	v_pack_b32_f16 v70, v35, v56
	v_add_f16_e32 v28, v28, v67
	v_add_f16_e32 v60, v64, v69
	ds_write2_b32 v39, v49, v25 offset1:195
	v_pack_b32_f16 v49, v29, v61
	v_fmamk_f16 v25, v63, 0x3aee, v26
	v_fmac_f16_e32 v26, 0xbaee, v63
	v_fmamk_f16 v59, v66, 0xbaee, v51
	v_fmac_f16_e32 v51, 0x3aee, v66
	v_pack_b32_f16 v68, v33, v55
	v_pack_b32_f16 v64, v30, v54
	;; [unrolled: 1-line block ×4, first 2 shown]
	ds_write_b32 v39, v70 offset:1560
	ds_write2_b32 v47, v50, v49 offset0:10 offset1:205
	ds_write2_b32 v48, v68, v64 offset0:20 offset1:215
	ds_write_b32 v39, v65 offset:4160
	ds_write_b32 v39, v67 offset:6760
	s_and_saveexec_b32 s1, s0
	s_cbranch_execz .LBB0_11
; %bb.10:
	v_perm_b32 v47, v60, v28, 0x5040100
	v_perm_b32 v48, v59, v25, 0x5040100
	;; [unrolled: 1-line block ×3, first 2 shown]
	ds_write_b32 v39, v47 offset:2340
	ds_write_b32 v39, v48 offset:4940
	;; [unrolled: 1-line block ×3, first 2 shown]
.LBB0_11:
	s_or_b32 exec_lo, exec_lo, s1
	s_waitcnt lgkmcnt(0)
	s_barrier
	buffer_gl0_inv
	s_and_saveexec_b32 s2, vcc_lo
	s_cbranch_execz .LBB0_13
; %bb.12:
	v_add_co_u32 v65, s1, s14, v37
	v_add_co_ci_u32_e64 v66, null, s15, 0, s1
	v_add_nc_u32_e32 v83, 0x200, v37
	v_add_co_u32 v47, s1, 0x1800, v65
	v_add_co_ci_u32_e64 v48, s1, 0, v66, s1
	v_add_nc_u32_e32 v84, 0x600, v37
	v_add_nc_u32_e32 v85, 0xb00, v37
	;; [unrolled: 1-line block ×3, first 2 shown]
	global_load_dword v67, v[47:48], off offset:1656
	v_add_co_u32 v47, s1, 0x1e78, v65
	v_add_co_ci_u32_e64 v48, s1, 0, v66, s1
	v_add_co_u32 v49, s1, 0x2000, v65
	v_add_co_ci_u32_e64 v50, s1, 0, v66, s1
	;; [unrolled: 2-line block ×3, first 2 shown]
	s_clause 0x6
	global_load_dword v71, v[47:48], off offset:600
	global_load_dword v72, v[47:48], off offset:1200
	;; [unrolled: 1-line block ×7, first 2 shown]
	v_add_co_u32 v47, s1, 0x3000, v65
	v_add_co_ci_u32_e64 v48, s1, 0, v66, s1
	v_add_co_u32 v49, s1, 0x3800, v65
	v_add_co_ci_u32_e64 v50, s1, 0, v66, s1
	s_clause 0x4
	global_load_dword v78, v[47:48], off offset:312
	global_load_dword v79, v[47:48], off offset:912
	;; [unrolled: 1-line block ×5, first 2 shown]
	ds_read_b32 v47, v39
	v_add_nc_u32_e32 v87, 0x1400, v37
	v_add_nc_u32_e32 v88, 0x1900, v37
	s_waitcnt lgkmcnt(0)
	v_lshrrev_b32_e32 v48, 16, v47
	s_waitcnt vmcnt(12)
	v_mul_f16_sdwa v49, v48, v67 dst_sel:DWORD dst_unused:UNUSED_PAD src0_sel:DWORD src1_sel:WORD_1
	v_mul_f16_sdwa v50, v47, v67 dst_sel:DWORD dst_unused:UNUSED_PAD src0_sel:DWORD src1_sel:WORD_1
	v_fma_f16 v47, v47, v67, -v49
	v_fmac_f16_e32 v50, v48, v67
	v_pack_b32_f16 v47, v47, v50
	ds_write_b32 v39, v47
	ds_read2_b32 v[47:48], v83 offset0:22 offset1:172
	ds_read2_b32 v[49:50], v84 offset0:66 offset1:216
	;; [unrolled: 1-line block ×6, first 2 shown]
	s_waitcnt lgkmcnt(5)
	v_lshrrev_b32_e32 v89, 16, v47
	s_waitcnt vmcnt(11)
	v_mul_f16_sdwa v90, v47, v71 dst_sel:DWORD dst_unused:UNUSED_PAD src0_sel:DWORD src1_sel:WORD_1
	v_lshrrev_b32_e32 v91, 16, v48
	s_waitcnt vmcnt(10)
	v_mul_f16_sdwa v92, v48, v72 dst_sel:DWORD dst_unused:UNUSED_PAD src0_sel:DWORD src1_sel:WORD_1
	s_waitcnt lgkmcnt(4)
	v_lshrrev_b32_e32 v93, 16, v49
	s_waitcnt vmcnt(5)
	v_mul_f16_sdwa v94, v49, v77 dst_sel:DWORD dst_unused:UNUSED_PAD src0_sel:DWORD src1_sel:WORD_1
	v_lshrrev_b32_e32 v95, 16, v50
	v_mul_f16_sdwa v96, v50, v73 dst_sel:DWORD dst_unused:UNUSED_PAD src0_sel:DWORD src1_sel:WORD_1
	s_waitcnt lgkmcnt(3)
	v_lshrrev_b32_e32 v97, 16, v63
	v_mul_f16_sdwa v98, v63, v74 dst_sel:DWORD dst_unused:UNUSED_PAD src0_sel:DWORD src1_sel:WORD_1
	v_lshrrev_b32_e32 v99, 16, v64
	v_mul_f16_sdwa v100, v64, v75 dst_sel:DWORD dst_unused:UNUSED_PAD src0_sel:DWORD src1_sel:WORD_1
	s_waitcnt lgkmcnt(2)
	v_lshrrev_b32_e32 v101, 16, v65
	v_mul_f16_sdwa v102, v65, v76 dst_sel:DWORD dst_unused:UNUSED_PAD src0_sel:DWORD src1_sel:WORD_1
	v_lshrrev_b32_e32 v103, 16, v66
	s_waitcnt vmcnt(4)
	v_mul_f16_sdwa v104, v66, v78 dst_sel:DWORD dst_unused:UNUSED_PAD src0_sel:DWORD src1_sel:WORD_1
	s_waitcnt lgkmcnt(1)
	v_lshrrev_b32_e32 v105, 16, v67
	s_waitcnt vmcnt(3)
	v_mul_f16_sdwa v106, v67, v79 dst_sel:DWORD dst_unused:UNUSED_PAD src0_sel:DWORD src1_sel:WORD_1
	v_lshrrev_b32_e32 v107, 16, v68
	s_waitcnt vmcnt(2)
	v_mul_f16_sdwa v108, v68, v80 dst_sel:DWORD dst_unused:UNUSED_PAD src0_sel:DWORD src1_sel:WORD_1
	s_waitcnt lgkmcnt(0)
	v_lshrrev_b32_e32 v109, 16, v69
	s_waitcnt vmcnt(1)
	v_mul_f16_sdwa v110, v69, v81 dst_sel:DWORD dst_unused:UNUSED_PAD src0_sel:DWORD src1_sel:WORD_1
	v_lshrrev_b32_e32 v111, 16, v70
	v_mul_f16_sdwa v113, v89, v71 dst_sel:DWORD dst_unused:UNUSED_PAD src0_sel:DWORD src1_sel:WORD_1
	v_fmac_f16_e32 v90, v89, v71
	v_mul_f16_sdwa v89, v91, v72 dst_sel:DWORD dst_unused:UNUSED_PAD src0_sel:DWORD src1_sel:WORD_1
	v_fmac_f16_e32 v92, v91, v72
	;; [unrolled: 2-line block ×9, first 2 shown]
	v_mul_f16_sdwa v105, v107, v80 dst_sel:DWORD dst_unused:UNUSED_PAD src0_sel:DWORD src1_sel:WORD_1
	s_waitcnt vmcnt(0)
	v_mul_f16_sdwa v112, v70, v82 dst_sel:DWORD dst_unused:UNUSED_PAD src0_sel:DWORD src1_sel:WORD_1
	v_fmac_f16_e32 v108, v107, v80
	v_mul_f16_sdwa v107, v109, v81 dst_sel:DWORD dst_unused:UNUSED_PAD src0_sel:DWORD src1_sel:WORD_1
	v_fmac_f16_e32 v110, v109, v81
	v_mul_f16_sdwa v109, v111, v82 dst_sel:DWORD dst_unused:UNUSED_PAD src0_sel:DWORD src1_sel:WORD_1
	v_fma_f16 v47, v47, v71, -v113
	v_fma_f16 v48, v48, v72, -v89
	;; [unrolled: 1-line block ×10, first 2 shown]
	v_fmac_f16_e32 v112, v111, v82
	v_fma_f16 v69, v69, v81, -v107
	v_fma_f16 v70, v70, v82, -v109
	v_pack_b32_f16 v47, v47, v90
	v_pack_b32_f16 v48, v48, v92
	;; [unrolled: 1-line block ×12, first 2 shown]
	ds_write2_b32 v83, v47, v48 offset0:22 offset1:172
	ds_write2_b32 v84, v49, v50 offset0:66 offset1:216
	;; [unrolled: 1-line block ×6, first 2 shown]
.LBB0_13:
	s_or_b32 exec_lo, exec_lo, s2
	s_waitcnt lgkmcnt(0)
	s_barrier
	buffer_gl0_inv
	s_and_saveexec_b32 s1, vcc_lo
	s_cbranch_execz .LBB0_15
; %bb.14:
	v_add_nc_u32_e32 v25, 0x400, v39
	v_add_nc_u32_e32 v26, 0x800, v39
	v_add_nc_u32_e32 v27, 0xe00, v39
	ds_read2_b32 v[31:32], v39 offset1:150
	ds_read2_b32 v[33:34], v25 offset0:44 offset1:194
	v_add_nc_u32_e32 v25, 0x1200, v39
	ds_read2_b32 v[29:30], v26 offset0:88 offset1:238
	v_add_nc_u32_e32 v26, 0x1600, v39
	ds_read2_b32 v[35:36], v27 offset0:4 offset1:154
	ds_read2_b32 v[27:28], v25 offset0:48 offset1:198
	ds_read2_b32 v[25:26], v26 offset0:92 offset1:242
	ds_read_b32 v41, v39 offset:7200
	s_waitcnt lgkmcnt(6)
	v_lshrrev_b32_e32 v52, 16, v31
	v_lshrrev_b32_e32 v58, 16, v32
	s_waitcnt lgkmcnt(5)
	v_lshrrev_b32_e32 v55, 16, v33
	v_lshrrev_b32_e32 v57, 16, v34
	;; [unrolled: 3-line block ×6, first 2 shown]
	s_waitcnt lgkmcnt(0)
	v_lshrrev_b32_e32 v42, 16, v41
.LBB0_15:
	s_or_b32 exec_lo, exec_lo, s1
	v_sub_f16_e32 v76, v58, v42
	v_add_f16_e32 v80, v42, v58
	v_add_f16_e32 v63, v41, v32
	v_sub_f16_e32 v77, v55, v51
	v_sub_f16_e32 v65, v32, v41
	v_mul_f16_e32 v83, 0xba95, v76
	v_mul_f16_e32 v87, 0x388b, v80
	v_add_f16_e32 v64, v26, v33
	v_add_f16_e32 v81, v51, v55
	v_mul_f16_e32 v96, 0xbbf1, v76
	v_fma_f16 v47, v63, 0x388b, -v83
	v_mul_f16_e32 v101, 0x2fb7, v80
	v_mul_f16_e32 v84, 0xbb7b, v77
	v_fmamk_f16 v48, v65, 0xba95, v87
	v_fma_f16 v49, v63, 0x2fb7, -v96
	v_add_f16_e32 v47, v31, v47
	v_fmamk_f16 v50, v65, 0xbbf1, v101
	v_fma_f16 v67, v64, 0xb5ac, -v84
	v_sub_f16_e32 v66, v33, v26
	v_mul_f16_e32 v91, 0xb5ac, v81
	v_sub_f16_e32 v78, v57, v59
	v_mul_f16_e32 v100, 0xb3a8, v77
	v_mul_f16_e32 v105, 0xbbc4, v81
	v_add_f16_e32 v86, v59, v57
	v_add_f16_e32 v48, v52, v48
	;; [unrolled: 1-line block ×5, first 2 shown]
	v_fmamk_f16 v69, v66, 0xbb7b, v91
	v_add_f16_e32 v67, v25, v34
	v_mul_f16_e32 v88, 0xb3a8, v78
	v_fma_f16 v70, v64, 0xbbc4, -v100
	v_fmamk_f16 v71, v66, 0xb3a8, v105
	v_sub_f16_e32 v68, v34, v25
	v_mul_f16_e32 v94, 0xbbc4, v86
	v_add_f16_e32 v90, v60, v61
	v_fma_f16 v72, v67, 0xbbc4, -v88
	v_add_f16_e32 v48, v69, v48
	v_add_f16_e32 v49, v70, v49
	;; [unrolled: 1-line block ×3, first 2 shown]
	v_fmamk_f16 v71, v68, 0xb3a8, v94
	v_sub_f16_e32 v79, v61, v60
	v_mul_f16_e32 v103, 0x3b7b, v78
	v_mul_f16_e32 v108, 0xb5ac, v86
	v_sub_f16_e32 v70, v29, v28
	v_mul_f16_e32 v97, 0xb9fd, v90
	v_add_f16_e32 v47, v72, v47
	v_add_f16_e32 v69, v28, v29
	v_fma_f16 v72, v67, 0xb5ac, -v103
	v_fmamk_f16 v73, v68, 0x3b7b, v108
	v_add_f16_e32 v48, v71, v48
	v_fmamk_f16 v71, v70, 0x394e, v97
	v_mul_f16_e32 v104, 0x3770, v79
	v_sub_f16_e32 v82, v54, v53
	v_mul_f16_e32 v92, 0x394e, v79
	v_add_f16_e32 v49, v72, v49
	v_add_f16_e32 v50, v73, v50
	;; [unrolled: 1-line block ×4, first 2 shown]
	v_fma_f16 v73, v69, 0x3b15, -v104
	v_add_f16_e32 v71, v27, v30
	v_mul_f16_e32 v106, 0xba95, v82
	v_fma_f16 v74, v69, 0xb9fd, -v92
	v_mul_f16_e32 v109, 0x3b15, v90
	v_mul_f16_e32 v95, 0x3bf1, v82
	v_sub_f16_e32 v72, v30, v27
	v_mul_f16_e32 v98, 0x2fb7, v93
	v_add_f16_e32 v49, v73, v49
	v_fma_f16 v85, v71, 0x388b, -v106
	v_add_f16_e32 v47, v74, v47
	v_fmamk_f16 v74, v70, 0x3770, v109
	v_fma_f16 v75, v71, 0x2fb7, -v95
	v_fmamk_f16 v73, v72, 0x3bf1, v98
	v_mul_f16_e32 v111, 0x388b, v93
	v_add_f16_e32 v112, v85, v49
	v_sub_f16_e32 v85, v56, v62
	v_add_f16_e32 v89, v62, v56
	v_add_f16_e32 v50, v74, v50
	;; [unrolled: 1-line block ×4, first 2 shown]
	v_fmamk_f16 v48, v72, 0xba95, v111
	v_add_f16_e32 v73, v36, v35
	v_sub_f16_e32 v74, v35, v36
	v_mul_f16_e32 v99, 0x3770, v85
	v_mul_f16_e32 v102, 0x3b15, v89
	;; [unrolled: 1-line block ×4, first 2 shown]
	v_add_f16_e32 v50, v48, v50
	v_fma_f16 v48, v73, 0x3b15, -v99
	v_fmamk_f16 v49, v74, 0x3770, v102
	v_fma_f16 v113, v73, 0xb9fd, -v107
	v_fmamk_f16 v114, v74, 0xb94e, v110
	v_add_f16_e32 v48, v48, v47
	v_add_f16_e32 v49, v49, v75
	;; [unrolled: 1-line block ×4, first 2 shown]
	s_barrier
	buffer_gl0_inv
	s_and_saveexec_b32 s1, vcc_lo
	s_cbranch_execz .LBB0_17
; %bb.16:
	v_mul_f16_e32 v112, 0xbbc4, v80
	v_mul_f16_e32 v116, 0x3b15, v81
	;; [unrolled: 1-line block ×5, first 2 shown]
	v_fmamk_f16 v75, v65, 0x33a8, v112
	v_fmamk_f16 v120, v66, 0xb770, v116
	v_mul_f16_e32 v122, 0x3770, v77
	v_fmamk_f16 v123, v68, 0x394e, v117
	v_fmamk_f16 v124, v63, 0xbbc4, v119
	v_add_f16_e32 v75, v52, v75
	v_mul_f16_e32 v121, 0xb5ac, v93
	v_fmamk_f16 v125, v70, 0xba95, v118
	v_fmamk_f16 v126, v64, 0x3b15, v122
	v_add_f16_e32 v124, v31, v124
	v_add_f16_e32 v75, v120, v75
	v_mul_f16_e32 v120, 0xb94e, v78
	v_fmamk_f16 v127, v72, 0x3b7b, v121
	v_mul_f16_e32 v129, 0xb9fd, v80
	v_add_f16_e32 v124, v126, v124
	v_add_f16_e32 v75, v123, v75
	v_mul_f16_e32 v126, 0x2fb7, v89
	v_fmamk_f16 v128, v67, 0xb9fd, v120
	v_fmamk_f16 v131, v65, 0x394e, v129
	v_mul_f16_e32 v132, 0x2fb7, v81
	v_add_f16_e32 v75, v125, v75
	v_mul_f16_e32 v125, 0x3a95, v79
	v_fmamk_f16 v130, v74, 0xbbf1, v126
	v_add_f16_e32 v124, v128, v124
	v_mul_f16_e32 v128, 0xbb7b, v82
	v_add_f16_e32 v75, v127, v75
	v_fmamk_f16 v127, v69, 0x388b, v125
	v_mul_f16_e32 v133, 0x388b, v86
	v_mul_f16_e32 v134, 0xb94e, v76
	;; [unrolled: 1-line block ×3, first 2 shown]
	v_add_f16_e32 v75, v130, v75
	v_add_f16_e32 v130, v52, v131
	v_fmamk_f16 v131, v66, 0xbbf1, v132
	v_add_f16_e32 v124, v127, v124
	v_fmamk_f16 v127, v71, 0xb5ac, v128
	;; [unrolled: 2-line block ×4, first 2 shown]
	v_add_f16_e32 v124, v127, v124
	v_mul_f16_e32 v127, 0x3bf1, v85
	v_mul_f16_e32 v138, 0x3bf1, v77
	;; [unrolled: 1-line block ×3, first 2 shown]
	v_add_f16_e32 v130, v131, v130
	v_fmamk_f16 v131, v70, 0xb3a8, v135
	v_add_f16_e32 v32, v33, v32
	v_add_f16_e32 v33, v58, v52
	v_fmamk_f16 v136, v73, 0x2fb7, v127
	v_add_f16_e32 v137, v31, v137
	v_fmamk_f16 v140, v64, 0x2fb7, v138
	v_mul_f16_e32 v141, 0xba95, v78
	v_add_f16_e32 v130, v131, v130
	v_fmamk_f16 v131, v72, 0xb770, v139
	v_add_f16_e32 v32, v34, v32
	v_add_f16_e32 v33, v55, v33
	;; [unrolled: 1-line block ×4, first 2 shown]
	v_fmamk_f16 v137, v67, 0x388b, v141
	v_mul_f16_e32 v140, 0x33a8, v79
	v_add_f16_e32 v130, v131, v130
	v_mul_f16_e32 v131, 0xb5ac, v89
	v_mul_f16_e32 v142, 0xb5ac, v80
	v_add_f16_e32 v29, v29, v32
	v_add_f16_e32 v32, v57, v33
	;; [unrolled: 1-line block ×3, first 2 shown]
	v_fmamk_f16 v137, v69, 0xbbc4, v140
	v_mul_f16_e32 v143, 0x3770, v82
	v_fmamk_f16 v144, v74, 0x3b7b, v131
	v_fmamk_f16 v145, v65, 0x3b7b, v142
	v_mul_f16_e32 v146, 0xb9fd, v81
	v_add_f16_e32 v29, v30, v29
	v_add_f16_e32 v30, v61, v32
	;; [unrolled: 1-line block ×3, first 2 shown]
	v_fmamk_f16 v137, v71, 0x3b15, v143
	v_add_f16_e32 v130, v144, v130
	v_add_f16_e32 v144, v52, v145
	v_fmamk_f16 v145, v66, 0xb94e, v146
	v_mul_f16_e32 v147, 0x3b15, v86
	v_mul_f16_e32 v148, 0xbb7b, v76
	v_add_f16_e32 v29, v35, v29
	v_add_f16_e32 v30, v54, v30
	;; [unrolled: 1-line block ×3, first 2 shown]
	v_mul_f16_e32 v137, 0xbb7b, v85
	v_add_f16_e32 v144, v145, v144
	v_fmamk_f16 v145, v68, 0xb770, v147
	v_mul_f16_e32 v149, 0x2fb7, v90
	v_fmamk_f16 v151, v63, 0xb5ac, v148
	v_mul_f16_e32 v152, 0x394e, v77
	v_add_f16_e32 v29, v36, v29
	v_add_f16_e32 v30, v56, v30
	v_mul_f16_e32 v115, 0xbbf1, v65
	v_fmamk_f16 v150, v73, 0xb5ac, v137
	v_add_f16_e32 v144, v145, v144
	v_fmamk_f16 v145, v70, 0x3bf1, v149
	v_mul_f16_e32 v153, 0xbbc4, v93
	v_add_f16_e32 v151, v31, v151
	v_fmamk_f16 v154, v64, 0xb9fd, v152
	v_mul_f16_e32 v155, 0x3770, v78
	v_add_f16_e32 v27, v27, v29
	v_add_f16_e32 v29, v62, v30
	v_mul_f16_e32 v123, 0xb3a8, v66
	v_add_f16_e32 v136, v150, v136
	v_add_f16_e32 v144, v145, v144
	v_fmamk_f16 v145, v72, 0xb3a8, v153
	v_add_f16_e32 v150, v154, v151
	v_fmamk_f16 v151, v67, 0x3b15, v155
	v_mul_f16_e32 v154, 0xbbf1, v79
	v_sub_f16_e32 v101, v101, v115
	v_mul_f16_e32 v76, 0xb770, v76
	v_add_f16_e32 v27, v28, v27
	v_add_f16_e32 v28, v53, v29
	;; [unrolled: 1-line block ×4, first 2 shown]
	v_fmamk_f16 v150, v69, 0x2fb7, v154
	v_add_f16_e32 v101, v52, v101
	v_sub_f16_e32 v105, v105, v123
	v_mul_f16_e32 v123, 0x33a8, v82
	v_fmamk_f16 v58, v63, 0x3b15, v76
	v_mul_f16_e32 v77, 0xba95, v77
	v_add_f16_e32 v25, v25, v27
	v_add_f16_e32 v27, v60, v28
	v_fma_f16 v28, v63, 0xbbc4, -v119
	v_mul_f16_e32 v151, 0x3b7b, v68
	v_add_f16_e32 v145, v150, v145
	v_add_f16_e32 v101, v105, v101
	v_fmamk_f16 v105, v71, 0xbbc4, v123
	v_add_f16_e32 v34, v31, v58
	v_fmamk_f16 v55, v64, 0x388b, v77
	v_mul_f16_e32 v58, 0xbbf1, v78
	v_add_f16_e32 v25, v26, v25
	v_add_f16_e32 v26, v59, v27
	;; [unrolled: 1-line block ×3, first 2 shown]
	v_fma_f16 v28, v64, 0x3b15, -v122
	v_sub_f16_e32 v108, v108, v151
	v_mul_f16_e32 v151, 0x2fb7, v63
	v_add_f16_e32 v105, v105, v145
	v_mul_f16_e32 v145, 0x3770, v70
	v_add_f16_e32 v34, v55, v34
	v_fmamk_f16 v55, v67, 0x2fb7, v58
	v_mul_f16_e32 v32, 0xbb7b, v79
	v_add_f16_e32 v27, v28, v27
	v_fma_f16 v28, v67, 0xb9fd, -v120
	v_add_f16_e32 v101, v108, v101
	v_mul_f16_e32 v108, 0xbbc4, v64
	v_add_f16_e32 v96, v151, v96
	v_sub_f16_e32 v109, v109, v145
	v_mul_f16_e32 v145, 0xba95, v72
	v_add_f16_e32 v34, v55, v34
	v_fmamk_f16 v35, v69, 0xb5ac, v32
	v_mul_f16_e32 v54, 0xb94e, v82
	v_add_f16_e32 v27, v28, v27
	v_fma_f16 v28, v69, 0x388b, -v125
	v_mul_f16_e32 v114, 0xba95, v65
	v_add_f16_e32 v100, v108, v100
	v_add_f16_e32 v96, v31, v96
	;; [unrolled: 1-line block ×3, first 2 shown]
	v_mul_f16_e32 v109, 0xb5ac, v67
	v_sub_f16_e32 v111, v111, v145
	v_add_f16_e32 v34, v35, v34
	v_fmamk_f16 v35, v71, 0xb9fd, v54
	v_add_f16_e32 v27, v28, v27
	v_fma_f16 v28, v63, 0xb9fd, -v134
	v_mul_f16_e32 v144, 0x388b, v89
	v_mul_f16_e32 v151, 0xbb7b, v66
	v_add_f16_e32 v96, v100, v96
	v_add_f16_e32 v103, v109, v103
	;; [unrolled: 1-line block ×3, first 2 shown]
	v_mul_f16_e32 v111, 0x3b15, v69
	v_sub_f16_e32 v87, v87, v114
	v_mul_f16_e32 v114, 0xb94e, v74
	v_add_f16_e32 v30, v35, v34
	v_add_f16_e32 v25, v41, v25
	v_fma_f16 v35, v71, 0xb5ac, -v128
	v_add_f16_e32 v28, v31, v28
	v_fma_f16 v41, v64, 0x2fb7, -v138
	v_mul_f16_e32 v113, 0x388b, v63
	v_fmamk_f16 v150, v74, 0xba95, v144
	v_mul_f16_e32 v109, 0xb3a8, v68
	v_add_f16_e32 v96, v103, v96
	v_add_f16_e32 v104, v111, v104
	v_sub_f16_e32 v91, v91, v151
	v_add_f16_e32 v87, v52, v87
	v_sub_f16_e32 v110, v110, v114
	v_mul_f16_e32 v114, 0x388b, v71
	v_add_f16_e32 v26, v51, v26
	v_add_f16_e32 v27, v35, v27
	v_fmac_f16_e32 v142, 0xbb7b, v65
	v_add_f16_e32 v28, v41, v28
	v_fma_f16 v35, v67, 0x388b, -v141
	v_add_f16_e32 v115, v150, v115
	v_mul_f16_e32 v150, 0xb5ac, v64
	v_mul_f16_e32 v108, 0x3a95, v85
	;; [unrolled: 1-line block ×3, first 2 shown]
	v_add_f16_e32 v96, v104, v96
	v_add_f16_e32 v87, v91, v87
	v_sub_f16_e32 v94, v94, v109
	v_mul_f16_e32 v109, 0xb9fd, v73
	v_add_f16_e32 v106, v114, v106
	v_add_f16_e32 v83, v113, v83
	;; [unrolled: 1-line block ×4, first 2 shown]
	v_fmac_f16_e32 v146, 0x394e, v66
	v_add_f16_e32 v28, v35, v28
	v_fma_f16 v35, v69, 0xbbc4, -v140
	v_fmamk_f16 v145, v73, 0x388b, v108
	v_mul_f16_e32 v100, 0xbbc4, v67
	v_mul_f16_e32 v151, 0x3bf1, v72
	v_add_f16_e32 v87, v94, v87
	v_sub_f16_e32 v94, v97, v103
	v_add_f16_e32 v96, v106, v96
	v_add_f16_e32 v83, v31, v83
	;; [unrolled: 1-line block ×4, first 2 shown]
	v_mul_f16_e32 v80, 0x3b15, v80
	v_fma_f16 v41, v73, 0x2fb7, -v127
	v_add_f16_e32 v42, v146, v42
	v_fmac_f16_e32 v147, 0x3770, v68
	v_add_f16_e32 v28, v35, v28
	v_fma_f16 v35, v71, 0x3b15, -v143
	v_add_f16_e32 v105, v145, v105
	v_mul_f16_e32 v145, 0xb9fd, v69
	v_add_f16_e32 v87, v94, v87
	v_sub_f16_e32 v94, v98, v151
	v_add_f16_e32 v83, v84, v83
	v_add_f16_e32 v84, v100, v88
	;; [unrolled: 1-line block ×3, first 2 shown]
	v_fmamk_f16 v96, v65, 0x3770, v80
	v_mul_f16_e32 v81, 0x388b, v81
	v_mul_f16_e32 v36, 0xb3a8, v85
	v_add_f16_e32 v27, v41, v27
	v_add_f16_e32 v41, v147, v42
	;; [unrolled: 1-line block ×3, first 2 shown]
	v_fma_f16 v35, v73, 0xb5ac, -v137
	v_fma_f16 v42, v63, 0xb5ac, -v148
	v_mul_f16_e32 v111, 0x2fb7, v71
	v_mul_f16_e32 v91, 0x3770, v74
	v_add_f16_e32 v87, v94, v87
	v_add_f16_e32 v83, v84, v83
	;; [unrolled: 1-line block ×4, first 2 shown]
	v_fmamk_f16 v94, v66, 0x3a95, v81
	v_mul_f16_e32 v86, 0x2fb7, v86
	v_fmac_f16_e32 v112, 0xb3a8, v65
	v_fmamk_f16 v34, v73, 0xbbc4, v36
	v_fmac_f16_e32 v129, 0xb94e, v65
	v_add_f16_e32 v28, v35, v28
	v_add_f16_e32 v35, v31, v42
	v_fma_f16 v42, v64, 0xb9fd, -v152
	v_fmac_f16_e32 v80, 0xb770, v65
	v_fma_f16 v51, v63, 0x3b15, -v76
	v_mul_f16_e32 v104, 0x3b15, v73
	v_sub_f16_e32 v91, v102, v91
	v_add_f16_e32 v83, v84, v83
	v_add_f16_e32 v84, v111, v95
	;; [unrolled: 1-line block ×3, first 2 shown]
	v_fmamk_f16 v94, v68, 0x3bf1, v86
	v_mul_f16_e32 v90, 0xb5ac, v90
	v_add_f16_e32 v29, v52, v112
	v_fmac_f16_e32 v116, 0x3770, v66
	v_add_f16_e32 v30, v34, v30
	v_add_f16_e32 v34, v52, v129
	v_fmac_f16_e32 v132, 0x3bf1, v66
	v_add_f16_e32 v35, v42, v35
	v_fma_f16 v42, v67, 0x3b15, -v155
	v_add_f16_e32 v52, v52, v80
	v_fmac_f16_e32 v81, 0xba95, v66
	v_add_f16_e32 v31, v31, v51
	v_fma_f16 v51, v64, 0x388b, -v77
	v_add_f16_e32 v87, v91, v87
	v_add_f16_e32 v83, v84, v83
	;; [unrolled: 1-line block ×4, first 2 shown]
	v_fmamk_f16 v92, v70, 0x3b7b, v90
	v_mul_f16_e32 v93, 0xb9fd, v93
	v_add_f16_e32 v29, v116, v29
	v_fmac_f16_e32 v117, 0xb94e, v68
	v_add_f16_e32 v34, v132, v34
	v_fmac_f16_e32 v133, 0xba95, v68
	v_add_f16_e32 v35, v42, v35
	v_fma_f16 v42, v69, 0x2fb7, -v154
	v_add_f16_e32 v52, v81, v52
	v_fmac_f16_e32 v86, 0xbbf1, v68
	v_add_f16_e32 v31, v51, v31
	v_fma_f16 v51, v67, 0x2fb7, -v58
	v_add_f16_e32 v83, v84, v83
	v_add_f16_e32 v84, v92, v91
	v_fmamk_f16 v91, v72, 0x394e, v93
	v_mul_f16_e32 v33, 0xbbc4, v89
	v_add_f16_e32 v29, v117, v29
	v_fmac_f16_e32 v118, 0x3a95, v70
	v_add_f16_e32 v34, v133, v34
	v_fmac_f16_e32 v135, 0x33a8, v70
	v_fmac_f16_e32 v149, 0xbbf1, v70
	v_add_f16_e32 v35, v42, v35
	v_fma_f16 v42, v71, 0xbbc4, -v123
	v_add_f16_e32 v52, v86, v52
	v_fmac_f16_e32 v90, 0xbb7b, v70
	v_add_f16_e32 v31, v51, v31
	v_fma_f16 v32, v69, 0xb5ac, -v32
	v_add_f16_e32 v84, v91, v84
	v_fmamk_f16 v57, v74, 0x33a8, v33
	v_add_f16_e32 v29, v118, v29
	v_fmac_f16_e32 v121, 0xbb7b, v72
	v_add_f16_e32 v34, v135, v34
	v_fmac_f16_e32 v139, 0x3770, v72
	;; [unrolled: 2-line block ×3, first 2 shown]
	v_add_f16_e32 v35, v42, v35
	v_add_f16_e32 v42, v90, v52
	v_fmac_f16_e32 v93, 0xb94e, v72
	v_add_f16_e32 v31, v32, v31
	v_fma_f16 v32, v71, 0xb9fd, -v54
	v_add_f16_e32 v55, v57, v84
	v_mov_b32_e32 v52, 2
	v_add_f16_e32 v101, v110, v101
	v_add_f16_e32 v29, v121, v29
	v_fmac_f16_e32 v126, 0x3bf1, v74
	v_add_f16_e32 v34, v139, v34
	v_fmac_f16_e32 v131, 0xbb7b, v74
	;; [unrolled: 2-line block ×3, first 2 shown]
	v_fma_f16 v51, v73, 0x388b, -v108
	v_add_f16_e32 v42, v93, v42
	v_fmac_f16_e32 v33, 0xb3a8, v74
	v_add_f16_e32 v31, v32, v31
	v_fma_f16 v32, v73, 0xbbc4, -v36
	v_lshlrev_b32_sdwa v36, v52, v40 dst_sel:DWORD dst_unused:UNUSED_PAD src0_sel:DWORD src1_sel:WORD_0
	v_pack_b32_f16 v30, v30, v55
	v_pack_b32_f16 v25, v25, v26
	v_add_f16_e32 v29, v126, v29
	v_pack_b32_f16 v26, v88, v101
	v_pack_b32_f16 v40, v83, v87
	v_add_f16_e32 v34, v131, v34
	v_add_f16_e32 v41, v144, v41
	;; [unrolled: 1-line block ×5, first 2 shown]
	ds_write2_b32 v36, v25, v30 offset1:1
	ds_write2_b32 v36, v40, v26 offset0:2 offset1:3
	v_pack_b32_f16 v25, v136, v130
	v_pack_b32_f16 v26, v105, v115
	;; [unrolled: 1-line block ×6, first 2 shown]
	v_perm_b32 v32, v49, v48, 0x5040100
	v_perm_b32 v34, v50, v47, 0x5040100
	v_pack_b32_f16 v31, v31, v33
	ds_write2_b32 v36, v26, v25 offset0:4 offset1:5
	ds_write2_b32 v36, v29, v27 offset0:6 offset1:7
	;; [unrolled: 1-line block ×4, first 2 shown]
	ds_write_b32 v36, v31 offset:48
.LBB0_17:
	s_or_b32 exec_lo, exec_lo, s1
	v_add_nc_u32_e32 v35, 0x600, v39
	v_add_nc_u32_e32 v36, 0xc00, v39
	;; [unrolled: 1-line block ×4, first 2 shown]
	s_waitcnt lgkmcnt(0)
	s_barrier
	buffer_gl0_inv
	ds_read2_b32 v[25:26], v39 offset1:195
	ds_read2_b32 v[27:28], v35 offset0:6 offset1:201
	ds_read2_b32 v[29:30], v36 offset0:12 offset1:207
	;; [unrolled: 1-line block ×4, first 2 shown]
	s_waitcnt lgkmcnt(0)
	s_barrier
	buffer_gl0_inv
	v_lshrrev_b32_e32 v52, 16, v27
	v_lshrrev_b32_e32 v53, 16, v29
	v_lshrrev_b32_e32 v54, 16, v31
	v_mul_f16_sdwa v59, v4, v27 dst_sel:DWORD dst_unused:UNUSED_PAD src0_sel:WORD_1 src1_sel:DWORD
	v_mul_f16_sdwa v61, v5, v29 dst_sel:DWORD dst_unused:UNUSED_PAD src0_sel:WORD_1 src1_sel:DWORD
	v_lshrrev_b32_e32 v55, 16, v33
	v_lshrrev_b32_e32 v56, 16, v28
	v_mul_f16_sdwa v62, v6, v31 dst_sel:DWORD dst_unused:UNUSED_PAD src0_sel:WORD_1 src1_sel:DWORD
	v_mul_f16_sdwa v63, v4, v52 dst_sel:DWORD dst_unused:UNUSED_PAD src0_sel:WORD_1 src1_sel:DWORD
	v_fma_f16 v52, v4, v52, -v59
	v_mul_f16_sdwa v59, v5, v53 dst_sel:DWORD dst_unused:UNUSED_PAD src0_sel:WORD_1 src1_sel:DWORD
	v_fma_f16 v53, v5, v53, -v61
	v_mul_f16_sdwa v61, v6, v54 dst_sel:DWORD dst_unused:UNUSED_PAD src0_sel:WORD_1 src1_sel:DWORD
	v_lshrrev_b32_e32 v57, 16, v30
	v_mul_f16_sdwa v64, v7, v55 dst_sel:DWORD dst_unused:UNUSED_PAD src0_sel:WORD_1 src1_sel:DWORD
	v_fma_f16 v54, v6, v54, -v62
	v_fmac_f16_e32 v63, v4, v27
	v_fmac_f16_e32 v59, v5, v29
	;; [unrolled: 1-line block ×3, first 2 shown]
	v_mul_f16_sdwa v4, v7, v33 dst_sel:DWORD dst_unused:UNUSED_PAD src0_sel:WORD_1 src1_sel:DWORD
	v_mul_f16_sdwa v5, v0, v56 dst_sel:DWORD dst_unused:UNUSED_PAD src0_sel:WORD_1 src1_sel:DWORD
	;; [unrolled: 1-line block ×3, first 2 shown]
	v_lshrrev_b32_e32 v58, 16, v32
	v_lshrrev_b32_e32 v60, 16, v34
	v_fmac_f16_e32 v64, v7, v33
	v_mul_f16_sdwa v27, v1, v57 dst_sel:DWORD dst_unused:UNUSED_PAD src0_sel:WORD_1 src1_sel:DWORD
	v_mul_f16_sdwa v29, v1, v30 dst_sel:DWORD dst_unused:UNUSED_PAD src0_sel:WORD_1 src1_sel:DWORD
	v_fma_f16 v4, v7, v55, -v4
	v_fmac_f16_e32 v5, v0, v28
	v_fma_f16 v0, v0, v56, -v6
	v_add_f16_e32 v6, v59, v61
	v_lshrrev_b32_e32 v42, 16, v25
	v_fmac_f16_e32 v27, v1, v30
	v_fma_f16 v1, v1, v57, -v29
	v_mul_f16_sdwa v7, v2, v58 dst_sel:DWORD dst_unused:UNUSED_PAD src0_sel:WORD_1 src1_sel:DWORD
	v_mul_f16_sdwa v28, v2, v32 dst_sel:DWORD dst_unused:UNUSED_PAD src0_sel:WORD_1 src1_sel:DWORD
	;; [unrolled: 1-line block ×3, first 2 shown]
	v_add_f16_e32 v30, v25, v63
	v_fma_f16 v6, -0.5, v6, v25
	v_sub_f16_e32 v31, v52, v4
	v_add_f16_e32 v56, v63, v64
	v_fmac_f16_e32 v7, v2, v32
	v_fma_f16 v2, v2, v58, -v28
	v_fmac_f16_e32 v29, v3, v34
	v_add_f16_e32 v28, v30, v59
	v_fmamk_f16 v30, v31, 0xbb9c, v6
	v_sub_f16_e32 v32, v53, v54
	v_sub_f16_e32 v33, v63, v59
	;; [unrolled: 1-line block ×3, first 2 shown]
	v_mul_f16_sdwa v34, v3, v34 dst_sel:DWORD dst_unused:UNUSED_PAD src0_sel:WORD_1 src1_sel:DWORD
	v_fma_f16 v25, -0.5, v56, v25
	v_fmac_f16_e32 v6, 0x3b9c, v31
	v_add_f16_e32 v57, v42, v52
	v_fmac_f16_e32 v30, 0xb8b4, v32
	v_add_f16_e32 v33, v33, v55
	v_fma_f16 v3, v3, v60, -v34
	v_fmamk_f16 v34, v32, 0x3b9c, v25
	v_sub_f16_e32 v55, v59, v63
	v_sub_f16_e32 v56, v61, v64
	v_fmac_f16_e32 v6, 0x38b4, v32
	v_add_f16_e32 v58, v53, v54
	v_fmac_f16_e32 v25, 0xbb9c, v32
	v_add_f16_e32 v32, v57, v53
	v_fmac_f16_e32 v30, 0x34f2, v33
	v_fmac_f16_e32 v34, 0xb8b4, v31
	v_add_f16_e32 v55, v55, v56
	v_fma_f16 v56, -0.5, v58, v42
	v_sub_f16_e32 v57, v63, v64
	v_fmac_f16_e32 v6, 0x34f2, v33
	v_fmac_f16_e32 v25, 0x38b4, v31
	v_add_f16_e32 v31, v32, v54
	v_add_f16_e32 v33, v52, v4
	v_fmamk_f16 v32, v57, 0x3b9c, v56
	v_sub_f16_e32 v58, v59, v61
	v_sub_f16_e32 v59, v52, v53
	;; [unrolled: 1-line block ×3, first 2 shown]
	v_fmac_f16_e32 v42, -0.5, v33
	v_add_f16_e32 v31, v31, v4
	v_fmac_f16_e32 v56, 0xbb9c, v57
	v_sub_f16_e32 v52, v53, v52
	v_sub_f16_e32 v4, v54, v4
	v_add_f16_e32 v53, v27, v7
	v_fmac_f16_e32 v34, 0x34f2, v55
	v_fmac_f16_e32 v25, 0x34f2, v55
	;; [unrolled: 1-line block ×3, first 2 shown]
	v_add_f16_e32 v33, v59, v60
	v_fmamk_f16 v55, v58, 0xbb9c, v42
	v_fmac_f16_e32 v56, 0xb8b4, v58
	v_add_f16_e32 v4, v52, v4
	v_fmac_f16_e32 v42, 0x3b9c, v58
	v_add_f16_e32 v52, v26, v5
	v_fma_f16 v53, -0.5, v53, v26
	v_sub_f16_e32 v54, v0, v3
	v_fmac_f16_e32 v32, 0x34f2, v33
	v_fmac_f16_e32 v55, 0x38b4, v57
	;; [unrolled: 1-line block ×4, first 2 shown]
	v_add_f16_e32 v33, v52, v27
	v_fmamk_f16 v52, v54, 0xbb9c, v53
	v_sub_f16_e32 v57, v1, v2
	v_sub_f16_e32 v58, v5, v27
	;; [unrolled: 1-line block ×3, first 2 shown]
	v_fmac_f16_e32 v53, 0x3b9c, v54
	v_add_f16_e32 v60, v5, v29
	v_lshrrev_b32_e32 v51, 16, v26
	v_add_f16_e32 v33, v33, v7
	v_fmac_f16_e32 v52, 0xb8b4, v57
	v_add_f16_e32 v58, v58, v59
	v_fmac_f16_e32 v53, 0x38b4, v57
	v_fmac_f16_e32 v26, -0.5, v60
	v_sub_f16_e32 v59, v27, v5
	v_sub_f16_e32 v60, v7, v29
	v_fmac_f16_e32 v55, 0x34f2, v4
	v_fmac_f16_e32 v42, 0x34f2, v4
	v_add_f16_e32 v4, v33, v29
	v_fmac_f16_e32 v52, 0x34f2, v58
	v_fmac_f16_e32 v53, 0x34f2, v58
	v_fmamk_f16 v33, v57, 0x3b9c, v26
	v_add_f16_e32 v58, v1, v2
	v_fmac_f16_e32 v26, 0xbb9c, v57
	v_add_f16_e32 v57, v51, v0
	v_sub_f16_e32 v5, v5, v29
	v_add_f16_e32 v29, v59, v60
	v_add_f16_e32 v59, v0, v3
	v_fma_f16 v58, -0.5, v58, v51
	v_fmac_f16_e32 v33, 0xb8b4, v54
	v_fmac_f16_e32 v26, 0x38b4, v54
	v_add_f16_e32 v54, v57, v1
	v_sub_f16_e32 v7, v27, v7
	v_fmac_f16_e32 v51, -0.5, v59
	v_add_f16_e32 v28, v28, v61
	v_fmamk_f16 v57, v5, 0x3b9c, v58
	v_fmac_f16_e32 v33, 0x34f2, v29
	v_fmac_f16_e32 v26, 0x34f2, v29
	v_add_f16_e32 v27, v54, v2
	v_sub_f16_e32 v29, v0, v1
	v_sub_f16_e32 v54, v3, v2
	v_fmac_f16_e32 v58, 0xbb9c, v5
	v_fmamk_f16 v59, v7, 0xbb9c, v51
	v_sub_f16_e32 v0, v1, v0
	v_sub_f16_e32 v1, v2, v3
	v_fmac_f16_e32 v51, 0x3b9c, v7
	v_add_f16_e32 v28, v28, v64
	v_fmac_f16_e32 v57, 0x38b4, v7
	v_add_f16_e32 v2, v29, v54
	v_fmac_f16_e32 v58, 0xb8b4, v7
	v_fmac_f16_e32 v59, 0x38b4, v5
	v_add_f16_e32 v0, v0, v1
	v_fmac_f16_e32 v51, 0xb8b4, v5
	v_add_f16_e32 v1, v27, v3
	v_fmac_f16_e32 v57, 0x34f2, v2
	v_fmac_f16_e32 v58, 0x34f2, v2
	v_pack_b32_f16 v2, v28, v31
	v_pack_b32_f16 v3, v30, v32
	v_fmac_f16_e32 v59, 0x34f2, v0
	v_fmac_f16_e32 v51, 0x34f2, v0
	v_pack_b32_f16 v0, v34, v55
	v_pack_b32_f16 v1, v4, v1
	ds_write2_b32 v44, v2, v3 offset1:13
	v_pack_b32_f16 v2, v25, v42
	v_pack_b32_f16 v3, v6, v56
	;; [unrolled: 1-line block ×6, first 2 shown]
	ds_write2_b32 v44, v0, v2 offset0:26 offset1:39
	ds_write_b32 v44, v3 offset:208
	ds_write2_b32 v43, v1, v4 offset1:13
	ds_write2_b32 v43, v5, v6 offset0:26 offset1:39
	ds_write_b32 v43, v7 offset:208
	s_waitcnt lgkmcnt(0)
	s_barrier
	buffer_gl0_inv
	ds_read2_b32 v[0:1], v39 offset1:195
	ds_read2_b32 v[2:3], v35 offset0:6 offset1:201
	ds_read2_b32 v[4:5], v36 offset0:12 offset1:207
	;; [unrolled: 1-line block ×4, first 2 shown]
	s_waitcnt lgkmcnt(0)
	s_barrier
	buffer_gl0_inv
	v_lshrrev_b32_e32 v28, 16, v1
	v_lshrrev_b32_e32 v29, 16, v2
	;; [unrolled: 1-line block ×4, first 2 shown]
	v_mul_f16_sdwa v40, v12, v1 dst_sel:DWORD dst_unused:UNUSED_PAD src0_sel:WORD_1 src1_sel:DWORD
	v_mul_f16_sdwa v35, v12, v28 dst_sel:DWORD dst_unused:UNUSED_PAD src0_sel:WORD_1 src1_sel:DWORD
	;; [unrolled: 1-line block ×3, first 2 shown]
	v_lshrrev_b32_e32 v32, 16, v5
	v_lshrrev_b32_e32 v33, 16, v6
	;; [unrolled: 1-line block ×3, first 2 shown]
	v_fmac_f16_e32 v35, v12, v1
	v_mul_f16_sdwa v1, v13, v2 dst_sel:DWORD dst_unused:UNUSED_PAD src0_sel:WORD_1 src1_sel:DWORD
	v_fma_f16 v12, v12, v28, -v40
	v_fmac_f16_e32 v41, v13, v2
	v_mul_f16_sdwa v2, v14, v30 dst_sel:DWORD dst_unused:UNUSED_PAD src0_sel:WORD_1 src1_sel:DWORD
	v_mul_f16_sdwa v28, v14, v3 dst_sel:DWORD dst_unused:UNUSED_PAD src0_sel:WORD_1 src1_sel:DWORD
	v_fma_f16 v1, v13, v29, -v1
	v_mul_f16_sdwa v13, v15, v31 dst_sel:DWORD dst_unused:UNUSED_PAD src0_sel:WORD_1 src1_sel:DWORD
	v_mul_f16_sdwa v29, v15, v4 dst_sel:DWORD dst_unused:UNUSED_PAD src0_sel:WORD_1 src1_sel:DWORD
	v_lshrrev_b32_e32 v36, 16, v25
	v_fmac_f16_e32 v2, v14, v3
	v_fma_f16 v3, v14, v30, -v28
	v_mul_f16_sdwa v14, v8, v32 dst_sel:DWORD dst_unused:UNUSED_PAD src0_sel:WORD_1 src1_sel:DWORD
	v_fmac_f16_e32 v13, v15, v4
	v_fma_f16 v4, v15, v31, -v29
	v_mul_f16_sdwa v15, v8, v5 dst_sel:DWORD dst_unused:UNUSED_PAD src0_sel:WORD_1 src1_sel:DWORD
	v_mul_f16_sdwa v28, v9, v33 dst_sel:DWORD dst_unused:UNUSED_PAD src0_sel:WORD_1 src1_sel:DWORD
	v_fmac_f16_e32 v14, v8, v5
	v_mul_f16_sdwa v29, v10, v34 dst_sel:DWORD dst_unused:UNUSED_PAD src0_sel:WORD_1 src1_sel:DWORD
	v_mul_f16_sdwa v5, v9, v6 dst_sel:DWORD dst_unused:UNUSED_PAD src0_sel:WORD_1 src1_sel:DWORD
	v_fma_f16 v8, v8, v32, -v15
	v_mul_f16_sdwa v15, v11, v36 dst_sel:DWORD dst_unused:UNUSED_PAD src0_sel:WORD_1 src1_sel:DWORD
	v_fmac_f16_e32 v28, v9, v6
	v_mul_f16_sdwa v6, v11, v25 dst_sel:DWORD dst_unused:UNUSED_PAD src0_sel:WORD_1 src1_sel:DWORD
	v_fmac_f16_e32 v29, v10, v7
	;; [unrolled: 2-line block ×3, first 2 shown]
	v_lshrrev_b32_e32 v42, 16, v26
	v_fma_f16 v5, v9, v33, -v5
	v_add_f16_e32 v9, v13, v28
	v_fma_f16 v6, v11, v36, -v6
	v_add_f16_e32 v31, v0, v41
	;; [unrolled: 2-line block ×3, first 2 shown]
	v_lshrrev_b32_e32 v27, 16, v0
	v_mul_f16_sdwa v30, v46, v42 dst_sel:DWORD dst_unused:UNUSED_PAD src0_sel:WORD_1 src1_sel:DWORD
	v_fma_f16 v9, -0.5, v9, v0
	v_sub_f16_e32 v32, v1, v6
	v_add_f16_e32 v10, v31, v13
	v_sub_f16_e32 v25, v4, v5
	v_sub_f16_e32 v31, v41, v13
	;; [unrolled: 1-line block ×3, first 2 shown]
	v_fmac_f16_e32 v0, -0.5, v34
	v_fmac_f16_e32 v30, v46, v26
	v_fmamk_f16 v11, v32, 0xbb9c, v9
	v_mul_f16_sdwa v26, v46, v26 dst_sel:DWORD dst_unused:UNUSED_PAD src0_sel:WORD_1 src1_sel:DWORD
	v_add_f16_e32 v31, v31, v33
	v_fmac_f16_e32 v9, 0x3b9c, v32
	v_fmamk_f16 v33, v25, 0x3b9c, v0
	v_add_f16_e32 v40, v27, v1
	v_fmac_f16_e32 v0, 0xbb9c, v25
	v_fmac_f16_e32 v11, 0xb8b4, v25
	v_fma_f16 v26, v46, v42, -v26
	v_sub_f16_e32 v34, v13, v41
	v_sub_f16_e32 v36, v28, v15
	v_fmac_f16_e32 v9, 0x38b4, v25
	v_add_f16_e32 v42, v4, v5
	v_fmac_f16_e32 v33, 0xb8b4, v32
	v_add_f16_e32 v25, v40, v4
	;; [unrolled: 2-line block ×3, first 2 shown]
	v_add_f16_e32 v10, v10, v28
	v_add_f16_e32 v34, v34, v36
	v_fma_f16 v36, -0.5, v42, v27
	v_add_f16_e32 v25, v25, v5
	v_sub_f16_e32 v13, v13, v28
	v_sub_f16_e32 v28, v1, v4
	;; [unrolled: 1-line block ×3, first 2 shown]
	v_fmac_f16_e32 v27, -0.5, v32
	v_sub_f16_e32 v1, v4, v1
	v_sub_f16_e32 v4, v5, v6
	v_add_f16_e32 v5, v35, v2
	v_add_f16_e32 v10, v10, v15
	v_sub_f16_e32 v15, v41, v15
	v_fmamk_f16 v32, v13, 0xbb9c, v27
	v_add_f16_e32 v1, v1, v4
	v_fmac_f16_e32 v27, 0x3b9c, v13
	v_add_f16_e32 v4, v5, v14
	v_fmac_f16_e32 v11, 0x34f2, v31
	v_fmac_f16_e32 v9, 0x34f2, v31
	v_fmamk_f16 v31, v15, 0x3b9c, v36
	v_fmac_f16_e32 v36, 0xbb9c, v15
	v_add_f16_e32 v5, v14, v29
	v_add_f16_e32 v25, v25, v6
	v_fmac_f16_e32 v32, 0x38b4, v15
	v_fmac_f16_e32 v27, 0xb8b4, v15
	v_add_f16_e32 v4, v4, v29
	v_add_f16_e32 v6, v2, v30
	v_fmac_f16_e32 v31, 0x38b4, v13
	v_fmac_f16_e32 v36, 0xb8b4, v13
	v_fma_f16 v5, -0.5, v5, v35
	v_sub_f16_e32 v13, v3, v26
	v_add_f16_e32 v28, v28, v40
	v_fmac_f16_e32 v32, 0x34f2, v1
	v_fmac_f16_e32 v27, 0x34f2, v1
	v_add_f16_e32 v1, v4, v30
	v_sub_f16_e32 v4, v8, v7
	v_fmac_f16_e32 v35, -0.5, v6
	v_fmamk_f16 v6, v13, 0xbb9c, v5
	v_fmac_f16_e32 v5, 0x3b9c, v13
	v_fmac_f16_e32 v33, 0x34f2, v34
	;; [unrolled: 1-line block ×5, first 2 shown]
	v_sub_f16_e32 v15, v2, v14
	v_sub_f16_e32 v28, v30, v29
	v_fmamk_f16 v34, v4, 0x3b9c, v35
	v_fmac_f16_e32 v35, 0xbb9c, v4
	v_sub_f16_e32 v40, v14, v2
	v_sub_f16_e32 v41, v29, v30
	v_fmac_f16_e32 v6, 0xb8b4, v4
	v_fmac_f16_e32 v5, 0x38b4, v4
	v_add_f16_e32 v4, v8, v7
	v_add_f16_e32 v15, v15, v28
	v_fmac_f16_e32 v34, 0xb8b4, v13
	v_fmac_f16_e32 v35, 0x38b4, v13
	v_add_f16_e32 v13, v3, v26
	v_add_f16_e32 v28, v40, v41
	v_fma_f16 v4, -0.5, v4, v12
	v_sub_f16_e32 v2, v2, v30
	v_fmac_f16_e32 v6, 0x34f2, v15
	v_fmac_f16_e32 v5, 0x34f2, v15
	v_add_f16_e32 v15, v12, v3
	v_sub_f16_e32 v14, v14, v29
	v_fmac_f16_e32 v12, -0.5, v13
	v_fmac_f16_e32 v34, 0x34f2, v28
	v_fmac_f16_e32 v35, 0x34f2, v28
	v_fmamk_f16 v13, v2, 0x3b9c, v4
	v_sub_f16_e32 v28, v3, v8
	v_sub_f16_e32 v29, v26, v7
	v_fmamk_f16 v30, v14, 0xbb9c, v12
	v_sub_f16_e32 v3, v8, v3
	v_sub_f16_e32 v40, v7, v26
	v_fmac_f16_e32 v12, 0x3b9c, v14
	v_fmac_f16_e32 v4, 0xbb9c, v2
	;; [unrolled: 1-line block ×3, first 2 shown]
	v_add_f16_e32 v28, v28, v29
	v_fmac_f16_e32 v30, 0x38b4, v2
	v_add_f16_e32 v3, v3, v40
	v_fmac_f16_e32 v12, 0xb8b4, v2
	v_fmac_f16_e32 v4, 0xb8b4, v14
	v_add_f16_e32 v2, v15, v8
	v_fmac_f16_e32 v13, 0x34f2, v28
	v_fmac_f16_e32 v30, 0x34f2, v3
	;; [unrolled: 1-line block ×4, first 2 shown]
	v_add_f16_e32 v2, v2, v7
	v_mul_f16_e32 v3, 0xb8b4, v13
	v_mul_f16_e32 v13, 0x3a79, v13
	;; [unrolled: 1-line block ×8, first 2 shown]
	v_add_f16_e32 v2, v2, v26
	v_fmac_f16_e32 v3, 0x3a79, v6
	v_fmac_f16_e32 v13, 0x38b4, v6
	;; [unrolled: 1-line block ×8, first 2 shown]
	v_add_f16_e32 v15, v10, v1
	v_add_f16_e32 v26, v11, v3
	;; [unrolled: 1-line block ×10, first 2 shown]
	v_sub_f16_e32 v1, v10, v1
	v_sub_f16_e32 v2, v25, v2
	v_sub_f16_e32 v3, v11, v3
	v_sub_f16_e32 v10, v33, v7
	v_sub_f16_e32 v0, v0, v8
	v_sub_f16_e32 v6, v9, v14
	v_sub_f16_e32 v8, v31, v13
	v_sub_f16_e32 v9, v32, v30
	v_sub_f16_e32 v11, v27, v12
	v_sub_f16_e32 v7, v36, v4
	v_pack_b32_f16 v4, v15, v5
	v_pack_b32_f16 v5, v26, v34
	;; [unrolled: 1-line block ×6, first 2 shown]
	v_add_nc_u32_e32 v2, 0x400, v45
	v_pack_b32_f16 v3, v3, v8
	v_pack_b32_f16 v8, v10, v9
	v_pack_b32_f16 v0, v0, v11
	v_pack_b32_f16 v9, v6, v7
	v_add_nc_u32_e32 v10, 0x800, v45
	ds_write2_b32 v45, v4, v5 offset1:65
	ds_write2_b32 v45, v12, v13 offset0:130 offset1:195
	ds_write2_b32 v2, v14, v1 offset0:4 offset1:69
	ds_write2_b32 v2, v3, v8 offset0:134 offset1:199
	ds_write2_b32 v10, v0, v9 offset0:8 offset1:73
	v_add_nc_u32_e32 v8, 0xa00, v39
	v_add_nc_u32_e32 v9, 0x1400, v39
	s_waitcnt lgkmcnt(0)
	s_barrier
	buffer_gl0_inv
	ds_read2_b32 v[0:1], v39 offset1:195
	ds_read2_b32 v[4:5], v8 offset0:10 offset1:205
	ds_read2_b32 v[2:3], v9 offset0:20 offset1:215
	ds_read_b32 v10, v39 offset:1560
	ds_read_b32 v12, v39 offset:4160
	;; [unrolled: 1-line block ×3, first 2 shown]
	s_and_saveexec_b32 s1, s0
	s_cbranch_execz .LBB0_19
; %bb.18:
	ds_read_b32 v6, v39 offset:2340
	ds_read_b32 v47, v39 offset:4940
	;; [unrolled: 1-line block ×3, first 2 shown]
	s_waitcnt lgkmcnt(2)
	v_lshrrev_b32_e32 v7, 16, v6
	s_waitcnt lgkmcnt(1)
	v_lshrrev_b32_e32 v50, 16, v47
	;; [unrolled: 2-line block ×3, first 2 shown]
.LBB0_19:
	s_or_b32 exec_lo, exec_lo, s1
	s_waitcnt lgkmcnt(4)
	v_lshrrev_b32_e32 v14, 16, v4
	s_waitcnt lgkmcnt(3)
	v_lshrrev_b32_e32 v15, 16, v2
	v_lshrrev_b32_e32 v26, 16, v5
	v_lshrrev_b32_e32 v27, 16, v3
	v_mul_f16_sdwa v31, v23, v4 dst_sel:DWORD dst_unused:UNUSED_PAD src0_sel:WORD_1 src1_sel:DWORD
	v_mul_f16_sdwa v29, v23, v14 dst_sel:DWORD dst_unused:UNUSED_PAD src0_sel:WORD_1 src1_sel:DWORD
	v_mul_f16_sdwa v33, v24, v15 dst_sel:DWORD dst_unused:UNUSED_PAD src0_sel:WORD_1 src1_sel:DWORD
	s_waitcnt lgkmcnt(1)
	v_lshrrev_b32_e32 v30, 16, v12
	s_waitcnt lgkmcnt(0)
	v_lshrrev_b32_e32 v32, 16, v11
	v_fma_f16 v14, v23, v14, -v31
	v_fmac_f16_e32 v29, v23, v4
	v_mul_f16_sdwa v4, v24, v2 dst_sel:DWORD dst_unused:UNUSED_PAD src0_sel:WORD_1 src1_sel:DWORD
	v_mul_f16_sdwa v23, v19, v26 dst_sel:DWORD dst_unused:UNUSED_PAD src0_sel:WORD_1 src1_sel:DWORD
	v_fmac_f16_e32 v33, v24, v2
	v_mul_f16_sdwa v2, v19, v5 dst_sel:DWORD dst_unused:UNUSED_PAD src0_sel:WORD_1 src1_sel:DWORD
	v_lshrrev_b32_e32 v13, 16, v0
	v_fma_f16 v4, v24, v15, -v4
	v_mul_f16_sdwa v15, v20, v27 dst_sel:DWORD dst_unused:UNUSED_PAD src0_sel:WORD_1 src1_sel:DWORD
	v_fmac_f16_e32 v23, v19, v5
	v_mul_f16_sdwa v5, v20, v3 dst_sel:DWORD dst_unused:UNUSED_PAD src0_sel:WORD_1 src1_sel:DWORD
	v_fma_f16 v2, v19, v26, -v2
	v_mul_f16_sdwa v19, v21, v30 dst_sel:DWORD dst_unused:UNUSED_PAD src0_sel:WORD_1 src1_sel:DWORD
	v_fmac_f16_e32 v15, v20, v3
	v_mul_f16_sdwa v3, v21, v12 dst_sel:DWORD dst_unused:UNUSED_PAD src0_sel:WORD_1 src1_sel:DWORD
	;; [unrolled: 4-line block ×3, first 2 shown]
	v_fma_f16 v3, v21, v30, -v3
	v_add_f16_e32 v21, v29, v33
	v_fmac_f16_e32 v20, v22, v11
	v_add_f16_e32 v11, v0, v29
	v_fma_f16 v12, v22, v32, -v12
	v_add_f16_e32 v22, v14, v4
	v_fma_f16 v0, -0.5, v21, v0
	v_sub_f16_e32 v21, v14, v4
	v_add_f16_e32 v14, v13, v14
	v_lshrrev_b32_e32 v25, 16, v1
	v_fmac_f16_e32 v13, -0.5, v22
	v_sub_f16_e32 v22, v29, v33
	v_add_f16_e32 v26, v1, v23
	v_add_f16_e32 v4, v14, v4
	;; [unrolled: 1-line block ×3, first 2 shown]
	v_fmamk_f16 v24, v21, 0xbaee, v0
	v_fmac_f16_e32 v0, 0x3aee, v21
	v_fmamk_f16 v21, v22, 0x3aee, v13
	v_fmac_f16_e32 v13, 0xbaee, v22
	v_add_f16_e32 v22, v2, v5
	v_fmac_f16_e32 v1, -0.5, v14
	v_sub_f16_e32 v14, v2, v5
	v_add_f16_e32 v2, v25, v2
	v_lshrrev_b32_e32 v28, 16, v10
	v_add_f16_e32 v26, v26, v15
	v_sub_f16_e32 v15, v23, v15
	v_add_f16_e32 v23, v19, v20
	v_add_f16_e32 v27, v3, v12
	v_add_f16_e32 v11, v11, v33
	v_fmac_f16_e32 v25, -0.5, v22
	v_add_f16_e32 v2, v2, v5
	v_fmamk_f16 v22, v14, 0xbaee, v1
	v_fmac_f16_e32 v1, 0x3aee, v14
	v_add_f16_e32 v14, v10, v19
	v_fmac_f16_e32 v10, -0.5, v23
	v_sub_f16_e32 v23, v3, v12
	v_add_f16_e32 v3, v28, v3
	v_fmac_f16_e32 v28, -0.5, v27
	v_sub_f16_e32 v19, v19, v20
	v_fmamk_f16 v5, v15, 0x3aee, v25
	v_pack_b32_f16 v4, v11, v4
	v_pack_b32_f16 v2, v26, v2
	v_fmac_f16_e32 v25, 0xbaee, v15
	v_add_f16_e32 v14, v14, v20
	v_add_f16_e32 v3, v3, v12
	v_fmamk_f16 v15, v23, 0xbaee, v10
	v_fmamk_f16 v11, v19, 0x3aee, v28
	v_fmac_f16_e32 v10, 0x3aee, v23
	v_fmac_f16_e32 v28, 0xbaee, v19
	v_pack_b32_f16 v12, v24, v21
	ds_write2_b32 v39, v4, v2 offset1:195
	v_pack_b32_f16 v2, v22, v5
	v_pack_b32_f16 v0, v0, v13
	;; [unrolled: 1-line block ×6, first 2 shown]
	ds_write2_b32 v8, v12, v2 offset0:10 offset1:205
	ds_write2_b32 v9, v0, v1 offset0:20 offset1:215
	ds_write_b32 v39, v3 offset:1560
	ds_write_b32 v39, v4 offset:4160
	;; [unrolled: 1-line block ×3, first 2 shown]
	s_and_saveexec_b32 s1, s0
	s_cbranch_execz .LBB0_21
; %bb.20:
	v_mul_f16_sdwa v0, v17, v47 dst_sel:DWORD dst_unused:UNUSED_PAD src0_sel:WORD_1 src1_sel:DWORD
	v_mul_f16_sdwa v1, v18, v48 dst_sel:DWORD dst_unused:UNUSED_PAD src0_sel:WORD_1 src1_sel:DWORD
	;; [unrolled: 1-line block ×4, first 2 shown]
	v_fma_f16 v0, v17, v50, -v0
	v_fma_f16 v1, v18, v49, -v1
	v_fmac_f16_e32 v2, v17, v47
	v_fmac_f16_e32 v3, v18, v48
	v_add_f16_e32 v9, v7, v0
	v_add_f16_e32 v4, v0, v1
	v_sub_f16_e32 v0, v0, v1
	v_add_f16_e32 v8, v2, v3
	v_sub_f16_e32 v5, v2, v3
	v_add_f16_e32 v2, v6, v2
	v_fma_f16 v4, -0.5, v4, v7
	v_add_f16_e32 v1, v9, v1
	v_fma_f16 v6, -0.5, v8, v6
	v_add_f16_e32 v2, v2, v3
	v_fmamk_f16 v3, v5, 0xbaee, v4
	v_fmac_f16_e32 v4, 0x3aee, v5
	v_fmamk_f16 v5, v0, 0x3aee, v6
	v_fmac_f16_e32 v6, 0xbaee, v0
	v_pack_b32_f16 v0, v2, v1
	v_pack_b32_f16 v2, v5, v3
	;; [unrolled: 1-line block ×3, first 2 shown]
	ds_write_b32 v39, v0 offset:2340
	ds_write_b32 v39, v1 offset:4940
	;; [unrolled: 1-line block ×3, first 2 shown]
.LBB0_21:
	s_or_b32 exec_lo, exec_lo, s1
	s_waitcnt lgkmcnt(0)
	s_barrier
	buffer_gl0_inv
	s_and_b32 exec_lo, exec_lo, vcc_lo
	s_cbranch_execz .LBB0_23
; %bb.22:
	s_clause 0x3
	global_load_dword v14, v37, s[14:15]
	global_load_dword v15, v37, s[14:15] offset:600
	global_load_dword v17, v37, s[14:15] offset:1200
	;; [unrolled: 1-line block ×3, first 2 shown]
	v_add_co_u32 v0, s0, s14, v37
	v_add_co_ci_u32_e64 v1, null, s15, 0, s0
	v_add_nc_u32_e32 v2, 0x200, v37
	v_add_co_u32 v4, vcc_lo, 0x800, v0
	v_add_co_ci_u32_e32 v5, vcc_lo, 0, v1, vcc_lo
	v_add_nc_u32_e32 v3, 0x600, v37
	v_add_nc_u32_e32 v20, 0xb00, v37
	s_clause 0x1
	global_load_dword v19, v[4:5], off offset:352
	global_load_dword v21, v[4:5], off offset:952
	ds_read_b32 v22, v39
	ds_read2_b32 v[8:9], v2 offset0:22 offset1:172
	ds_read2_b32 v[6:7], v3 offset0:66 offset1:216
	;; [unrolled: 1-line block ×3, first 2 shown]
	v_mad_u64_u32 v[12:13], null, s6, v16, 0
	v_mad_u64_u32 v[10:11], null, s4, v38, 0
	v_add_co_u32 v24, vcc_lo, 0x1000, v0
	v_add_co_ci_u32_e32 v25, vcc_lo, 0, v1, vcc_lo
	v_add_co_u32 v0, vcc_lo, 0x1800, v0
	v_add_co_ci_u32_e32 v1, vcc_lo, 0, v1, vcc_lo
	s_mov_b32 s16, 0xaa677344
	s_mov_b32 s17, 0x3f40cdd9
	s_mul_i32 s0, s5, 0x258
	s_mul_hi_u32 s18, s4, 0x258
	s_mul_i32 s19, s4, 0x258
	s_add_i32 s18, s18, s0
	s_waitcnt lgkmcnt(0)
	v_lshrrev_b32_e32 v40, 16, v2
	s_waitcnt vmcnt(5)
	v_mad_u64_u32 v[26:27], null, s7, v16, v[13:14]
	s_clause 0x5
	global_load_dword v36, v[4:5], off offset:1552
	global_load_dword v23, v[24:25], off offset:104
	;; [unrolled: 1-line block ×6, first 2 shown]
	v_lshrrev_b32_e32 v24, 16, v22
	v_mad_u64_u32 v[27:28], null, s5, v38, v[11:12]
	v_lshrrev_b32_e32 v25, 16, v8
	v_mul_f16_sdwa v30, v22, v14 dst_sel:DWORD dst_unused:UNUSED_PAD src0_sel:DWORD src1_sel:WORD_1
	v_mov_b32_e32 v13, v26
	v_lshrrev_b32_e32 v26, 16, v9
	v_mul_f16_sdwa v29, v24, v14 dst_sel:DWORD dst_unused:UNUSED_PAD src0_sel:DWORD src1_sel:WORD_1
	s_waitcnt vmcnt(10)
	v_mul_f16_sdwa v31, v25, v15 dst_sel:DWORD dst_unused:UNUSED_PAD src0_sel:DWORD src1_sel:WORD_1
	v_mov_b32_e32 v11, v27
	v_lshrrev_b32_e32 v27, 16, v6
	v_mul_f16_sdwa v32, v8, v15 dst_sel:DWORD dst_unused:UNUSED_PAD src0_sel:DWORD src1_sel:WORD_1
	s_waitcnt vmcnt(9)
	v_mul_f16_sdwa v33, v26, v17 dst_sel:DWORD dst_unused:UNUSED_PAD src0_sel:DWORD src1_sel:WORD_1
	v_mul_f16_sdwa v34, v9, v17 dst_sel:DWORD dst_unused:UNUSED_PAD src0_sel:DWORD src1_sel:WORD_1
	v_fmac_f16_e32 v29, v22, v14
	s_waitcnt vmcnt(8)
	v_mul_f16_sdwa v35, v27, v18 dst_sel:DWORD dst_unused:UNUSED_PAD src0_sel:DWORD src1_sel:WORD_1
	v_mul_f16_sdwa v38, v6, v18 dst_sel:DWORD dst_unused:UNUSED_PAD src0_sel:DWORD src1_sel:WORD_1
	v_fma_f16 v14, v14, v24, -v30
	v_fmac_f16_e32 v31, v8, v15
	v_fma_f16 v8, v15, v25, -v32
	v_fmac_f16_e32 v33, v9, v17
	v_fma_f16 v9, v17, v26, -v34
	v_cvt_f32_f16_e32 v15, v29
	v_fmac_f16_e32 v35, v6, v18
	v_fma_f16 v6, v18, v27, -v38
	v_cvt_f32_f16_e32 v14, v14
	v_cvt_f32_f16_e32 v22, v8
	;; [unrolled: 1-line block ×3, first 2 shown]
	v_cvt_f64_f32_e32 v[8:9], v15
	v_cvt_f32_f16_e32 v17, v31
	v_cvt_f64_f32_e32 v[14:15], v14
	v_lshrrev_b32_e32 v28, 16, v7
	v_cvt_f32_f16_e32 v26, v33
	v_cvt_f32_f16_e32 v30, v6
	v_cvt_f64_f32_e32 v[17:18], v17
	s_waitcnt vmcnt(7)
	v_mul_f16_sdwa v6, v7, v19 dst_sel:DWORD dst_unused:UNUSED_PAD src0_sel:DWORD src1_sel:WORD_1
	v_mul_f16_sdwa v31, v28, v19 dst_sel:DWORD dst_unused:UNUSED_PAD src0_sel:DWORD src1_sel:WORD_1
	v_cvt_f64_f32_e32 v[24:25], v22
	v_lshlrev_b64 v[12:13], 2, v[12:13]
	s_waitcnt vmcnt(6)
	v_mul_f16_sdwa v32, v40, v21 dst_sel:DWORD dst_unused:UNUSED_PAD src0_sel:DWORD src1_sel:WORD_1
	v_lshlrev_b64 v[10:11], 2, v[10:11]
	v_fmac_f16_e32 v31, v7, v19
	v_fma_f16 v19, v19, v28, -v6
	v_cvt_f64_f32_e32 v[6:7], v26
	v_cvt_f32_f16_e32 v29, v35
	v_cvt_f64_f32_e32 v[26:27], v27
	v_add_co_u32 v12, vcc_lo, s12, v12
	v_add_co_ci_u32_e32 v13, vcc_lo, s13, v13, vcc_lo
	v_mul_f64 v[8:9], v[8:9], s[16:17]
	v_mul_f16_sdwa v41, v2, v21 dst_sel:DWORD dst_unused:UNUSED_PAD src0_sel:DWORD src1_sel:WORD_1
	v_mul_f64 v[14:15], v[14:15], s[16:17]
	v_fmac_f16_e32 v32, v2, v21
	v_cvt_f32_f16_e32 v2, v31
	v_cvt_f64_f32_e32 v[28:29], v29
	v_add_co_u32 v10, vcc_lo, v12, v10
	v_mul_f64 v[17:18], v[17:18], s[16:17]
	v_add_co_ci_u32_e32 v11, vcc_lo, v13, v11, vcc_lo
	v_cvt_f32_f16_e32 v22, v32
	v_cvt_f64_f32_e32 v[32:33], v2
	v_fma_f16 v2, v21, v40, -v41
	v_cvt_f64_f32_e32 v[30:31], v30
	v_add_co_u32 v12, vcc_lo, v10, s19
	v_mul_f64 v[24:25], v[24:25], s[16:17]
	v_add_co_ci_u32_e32 v13, vcc_lo, s18, v11, vcc_lo
	v_cvt_f32_f16_e32 v2, v2
	v_add_co_u32 v21, vcc_lo, v12, s19
	v_mul_f64 v[6:7], v[6:7], s[16:17]
	v_cvt_f64_f32_e32 v[38:39], v22
	v_add_co_ci_u32_e32 v22, vcc_lo, s18, v13, vcc_lo
	v_cvt_f64_f32_e32 v[42:43], v2
	v_and_or_b32 v2, 0x1ff, v9, v8
	v_add_co_u32 v40, vcc_lo, v21, s19
	v_mul_f64 v[26:27], v[26:27], s[16:17]
	v_add_co_ci_u32_e32 v41, vcc_lo, s18, v22, vcc_lo
	v_and_or_b32 v14, 0x1ff, v15, v14
	v_cmp_ne_u32_e32 vcc_lo, 0, v2
	v_mul_f64 v[28:29], v[28:29], s[16:17]
	v_and_or_b32 v17, 0x1ff, v18, v17
	v_mul_f64 v[30:31], v[30:31], s[16:17]
	v_and_or_b32 v24, 0x1ff, v25, v24
	v_cndmask_b32_e64 v2, 0, 1, vcc_lo
	v_cmp_ne_u32_e32 vcc_lo, 0, v14
	v_cvt_f32_f16_e32 v19, v19
	v_lshrrev_b32_e32 v8, 8, v9
	v_lshrrev_b32_e32 v44, 8, v15
	v_and_or_b32 v6, 0x1ff, v7, v6
	v_cndmask_b32_e64 v14, 0, 1, vcc_lo
	v_cmp_ne_u32_e32 vcc_lo, 0, v17
	v_cvt_f64_f32_e32 v[34:35], v19
	v_bfe_u32 v19, v9, 20, 11
	v_bfe_u32 v51, v7, 20, 11
	v_and_or_b32 v2, 0xffe, v8, v2
	v_cndmask_b32_e64 v17, 0, 1, vcc_lo
	v_cmp_ne_u32_e32 vcc_lo, 0, v24
	v_and_or_b32 v26, 0x1ff, v27, v26
	v_bfe_u32 v53, v27, 20, 11
	v_bfe_u32 v45, v15, 20, 11
	v_lshrrev_b32_e32 v46, 8, v18
	v_cndmask_b32_e64 v24, 0, 1, vcc_lo
	v_cmp_ne_u32_e32 vcc_lo, 0, v6
	v_and_or_b32 v28, 0x1ff, v29, v28
	v_and_or_b32 v30, 0x1ff, v31, v30
	v_lshrrev_b32_e32 v50, 8, v7
	v_lshrrev_b32_e32 v52, 8, v27
	v_cndmask_b32_e64 v6, 0, 1, vcc_lo
	v_cmp_ne_u32_e32 vcc_lo, 0, v26
	v_bfe_u32 v55, v29, 20, 11
	v_bfe_u32 v57, v31, 20, 11
	v_sub_nc_u32_e32 v58, 0x3f1, v19
	v_add_nc_u32_e32 v19, 0xfffffc10, v19
	v_cndmask_b32_e64 v26, 0, 1, vcc_lo
	v_cmp_ne_u32_e32 vcc_lo, 0, v28
	v_sub_nc_u32_e32 v62, 0x3f1, v51
	v_sub_nc_u32_e32 v63, 0x3f1, v53
	v_and_or_b32 v14, 0xffe, v44, v14
	v_bfe_u32 v47, v18, 20, 11
	v_cndmask_b32_e64 v28, 0, 1, vcc_lo
	v_cmp_ne_u32_e32 vcc_lo, 0, v30
	v_lshrrev_b32_e32 v48, 8, v25
	v_lshrrev_b32_e32 v54, 8, v29
	;; [unrolled: 1-line block ×3, first 2 shown]
	v_sub_nc_u32_e32 v59, 0x3f1, v45
	v_cndmask_b32_e64 v30, 0, 1, vcc_lo
	v_cmp_ne_u32_e32 vcc_lo, 0, v2
	v_add_nc_u32_e32 v45, 0xfffffc10, v45
	v_sub_nc_u32_e32 v64, 0x3f1, v55
	v_sub_nc_u32_e32 v65, 0x3f1, v57
	v_and_or_b32 v17, 0xffe, v46, v17
	v_and_or_b32 v6, 0xffe, v50, v6
	v_med3_i32 v50, v62, 0, 13
	v_and_or_b32 v26, 0xffe, v52, v26
	v_med3_i32 v52, v63, 0, 13
	v_or_b32_e32 v62, 0x1000, v2
	v_lshl_or_b32 v63, v19, 12, v2
	v_cndmask_b32_e64 v2, 0, 1, vcc_lo
	v_cmp_ne_u32_e32 vcc_lo, 0, v14
	v_bfe_u32 v49, v25, 20, 11
	v_sub_nc_u32_e32 v60, 0x3f1, v47
	v_add_nc_u32_e32 v47, 0xfffffc10, v47
	v_and_or_b32 v24, 0xffe, v48, v24
	v_and_or_b32 v28, 0xffe, v54, v28
	v_med3_i32 v54, v64, 0, 13
	v_and_or_b32 v30, 0xffe, v56, v30
	v_med3_i32 v56, v65, 0, 13
	v_or_b32_e32 v64, 0x1000, v14
	v_lshl_or_b32 v65, v45, 12, v14
	v_cndmask_b32_e64 v14, 0, 1, vcc_lo
	v_cmp_ne_u32_e32 vcc_lo, 0, v17
	v_mul_f64 v[32:33], v[32:33], s[16:17]
	v_sub_nc_u32_e32 v61, 0x3f1, v49
	v_add_nc_u32_e32 v49, 0xfffffc10, v49
	v_or_b32_e32 v66, 0x1000, v17
	v_lshl_or_b32 v67, v47, 12, v17
	v_cndmask_b32_e64 v17, 0, 1, vcc_lo
	v_cmp_ne_u32_e32 vcc_lo, 0, v24
	v_add_nc_u32_e32 v51, 0xfffffc10, v51
	v_or_b32_e32 v68, 0x1000, v24
	v_lshl_or_b32 v69, v49, 12, v24
	v_mul_f64 v[34:35], v[34:35], s[16:17]
	v_cndmask_b32_e64 v24, 0, 1, vcc_lo
	v_cmp_ne_u32_e32 vcc_lo, 0, v6
	v_add_nc_u32_e32 v53, 0xfffffc10, v53
	v_or_b32_e32 v70, 0x1000, v6
	v_lshl_or_b32 v71, v51, 12, v6
	v_add_nc_u32_e32 v55, 0xfffffc10, v55
	v_cndmask_b32_e64 v6, 0, 1, vcc_lo
	v_cmp_ne_u32_e32 vcc_lo, 0, v26
	v_or_b32_e32 v72, 0x1000, v26
	v_lshl_or_b32 v73, v53, 12, v26
	v_add_nc_u32_e32 v57, 0xfffffc10, v57
	v_and_or_b32 v32, 0x1ff, v33, v32
	v_cndmask_b32_e64 v26, 0, 1, vcc_lo
	v_cmp_ne_u32_e32 vcc_lo, 0, v28
	v_or_b32_e32 v74, 0x1000, v28
	v_lshl_or_b32 v75, v55, 12, v28
	v_or_b32_e32 v76, 0x1000, v30
	v_lshl_or_b32 v77, v57, 12, v30
	v_cndmask_b32_e64 v28, 0, 1, vcc_lo
	v_cmp_ne_u32_e32 vcc_lo, 0, v30
	v_med3_i32 v8, v58, 0, 13
	v_lshrrev_b32_e32 v58, 8, v33
	v_and_or_b32 v34, 0x1ff, v35, v34
	v_med3_i32 v44, v59, 0, 13
	v_cndmask_b32_e64 v30, 0, 1, vcc_lo
	v_cmp_ne_u32_e32 vcc_lo, 0, v32
	v_med3_i32 v48, v61, 0, 13
	v_bfe_u32 v59, v33, 20, 11
	v_bfe_u32 v61, v35, 20, 11
	v_lshrrev_b32_e32 v80, v8, v62
	v_cndmask_b32_e64 v32, 0, 1, vcc_lo
	v_cmp_ne_u32_e32 vcc_lo, 0, v34
	v_med3_i32 v46, v60, 0, 13
	v_lshrrev_b32_e32 v60, 8, v35
	v_sub_nc_u32_e32 v78, 0x3f1, v59
	v_and_or_b32 v32, 0xffe, v58, v32
	v_add_nc_u32_e32 v59, 0xfffffc10, v59
	v_cndmask_b32_e64 v34, 0, 1, vcc_lo
	v_sub_nc_u32_e32 v79, 0x3f1, v61
	v_lshrrev_b32_e32 v81, v44, v64
	v_lshlrev_b32_e32 v8, v8, v80
	v_cmp_ne_u32_e32 vcc_lo, 0, v32
	v_lshrrev_b32_e32 v82, v46, v66
	v_med3_i32 v58, v78, 0, 13
	v_and_or_b32 v34, 0xffe, v60, v34
	v_med3_i32 v60, v79, 0, 13
	v_lshlrev_b32_e32 v44, v44, v81
	v_or_b32_e32 v78, 0x1000, v32
	v_lshl_or_b32 v79, v59, 12, v32
	v_cndmask_b32_e64 v32, 0, 1, vcc_lo
	v_cmp_ne_u32_e32 vcc_lo, v8, v62
	v_lshrrev_b32_e32 v83, v48, v68
	v_lshlrev_b32_e32 v46, v46, v82
	v_lshrrev_b32_e32 v84, v50, v70
	v_lshrrev_b32_e32 v85, v52, v72
	v_cndmask_b32_e64 v8, 0, 1, vcc_lo
	v_cmp_ne_u32_e32 vcc_lo, v44, v64
	v_lshlrev_b32_e32 v48, v48, v83
	v_lshlrev_b32_e32 v50, v50, v84
	v_lshrrev_b32_e32 v86, v54, v74
	v_lshlrev_b32_e32 v52, v52, v85
	v_cndmask_b32_e64 v44, 0, 1, vcc_lo
	v_cmp_ne_u32_e32 vcc_lo, v46, v66
	v_lshrrev_b32_e32 v87, v56, v76
	v_lshlrev_b32_e32 v54, v54, v86
	v_or_b32_e32 v8, v80, v8
	v_or_b32_e32 v44, v81, v44
	v_cndmask_b32_e64 v46, 0, 1, vcc_lo
	v_cmp_ne_u32_e32 vcc_lo, v48, v68
	v_lshlrev_b32_e32 v56, v56, v87
	v_or_b32_e32 v88, 0x1000, v34
	v_lshrrev_b32_e32 v62, v58, v78
	v_or_b32_e32 v46, v82, v46
	v_cndmask_b32_e64 v48, 0, 1, vcc_lo
	v_cmp_ne_u32_e32 vcc_lo, v50, v70
	v_lshrrev_b32_e32 v64, v60, v88
	v_lshlrev_b32_e32 v58, v58, v62
	v_lshl_or_b32 v2, v2, 9, 0x7c00
	v_or_b32_e32 v48, v83, v48
	v_cndmask_b32_e64 v50, 0, 1, vcc_lo
	v_cmp_ne_u32_e32 vcc_lo, v52, v72
	v_lshlrev_b32_e32 v60, v60, v64
	v_lshl_or_b32 v14, v14, 9, 0x7c00
	v_lshl_or_b32 v17, v17, 9, 0x7c00
	v_or_b32_e32 v50, v84, v50
	v_cndmask_b32_e64 v52, 0, 1, vcc_lo
	v_cmp_ne_u32_e32 vcc_lo, v54, v74
	v_cmp_gt_i32_e64 s15, 1, v59
	v_lshl_or_b32 v24, v24, 9, 0x7c00
	v_mul_f64 v[38:39], v[38:39], s[16:17]
	v_or_b32_e32 v52, v85, v52
	v_cndmask_b32_e64 v54, 0, 1, vcc_lo
	v_cmp_ne_u32_e32 vcc_lo, v56, v76
	v_lshrrev_b32_e32 v9, 16, v9
	v_lshrrev_b32_e32 v18, 16, v18
	v_lshl_or_b32 v6, v6, 9, 0x7c00
	v_or_b32_e32 v54, v86, v54
	v_cndmask_b32_e64 v56, 0, 1, vcc_lo
	v_cmp_gt_i32_e32 vcc_lo, 1, v19
	v_lshrrev_b32_e32 v15, 16, v15
	v_lshrrev_b32_e32 v25, 16, v25
	v_lshrrev_b32_e32 v7, 16, v7
	v_or_b32_e32 v56, v87, v56
	v_cndmask_b32_e32 v8, v63, v8, vcc_lo
	v_cmp_gt_i32_e32 vcc_lo, 1, v45
	v_lshl_or_b32 v26, v26, 9, 0x7c00
	v_lshrrev_b32_e32 v27, 16, v27
	v_add_nc_u32_e32 v61, 0xfffffc10, v61
	v_and_b32_e32 v63, 7, v8
	v_cndmask_b32_e32 v44, v65, v44, vcc_lo
	v_cmp_gt_i32_e32 vcc_lo, 1, v47
	v_lshrrev_b32_e32 v8, 2, v8
	v_lshl_or_b32 v89, v61, 12, v34
	v_cmp_eq_u32_e64 s0, 3, v63
	v_and_b32_e32 v65, 7, v44
	v_cndmask_b32_e32 v46, v67, v46, vcc_lo
	v_cmp_gt_i32_e32 vcc_lo, 1, v49
	v_lshrrev_b32_e32 v44, 2, v44
	v_lshl_or_b32 v28, v28, 9, 0x7c00
	v_cmp_lt_i32_e64 s1, 5, v65
	v_and_b32_e32 v66, 7, v46
	v_cndmask_b32_e32 v48, v69, v48, vcc_lo
	v_cmp_gt_i32_e32 vcc_lo, 1, v51
	v_cmp_eq_u32_e64 s2, 3, v65
	v_lshrrev_b32_e32 v46, 2, v46
	v_cmp_lt_i32_e64 s3, 5, v66
	v_and_b32_e32 v67, 7, v48
	v_cndmask_b32_e32 v50, v71, v50, vcc_lo
	v_cmp_gt_i32_e32 vcc_lo, 1, v53
	v_cmp_eq_u32_e64 s4, 3, v66
	v_lshrrev_b32_e32 v48, 2, v48
	;; [unrolled: 6-line block ×4, first 2 shown]
	v_cmp_lt_i32_e64 s9, 5, v69
	v_and_b32_e32 v70, 7, v54
	v_cndmask_b32_e32 v56, v77, v56, vcc_lo
	v_cmp_ne_u32_e32 vcc_lo, v58, v78
	v_cmp_eq_u32_e64 s10, 3, v69
	v_lshrrev_b32_e32 v54, 2, v54
	v_cmp_lt_i32_e64 s11, 5, v70
	v_and_b32_e32 v71, 7, v56
	v_cndmask_b32_e64 v58, 0, 1, vcc_lo
	v_cmp_ne_u32_e32 vcc_lo, v60, v88
	v_cmp_eq_u32_e64 s12, 3, v70
	v_lshrrev_b32_e32 v56, 2, v56
	v_cmp_lt_i32_e64 s13, 5, v71
	v_cmp_eq_u32_e64 s14, 3, v71
	v_cndmask_b32_e64 v60, 0, 1, vcc_lo
	v_cmp_lt_i32_e32 vcc_lo, 5, v63
	v_or_b32_e32 v58, v62, v58
	v_lshrrev_b32_e32 v29, 16, v29
	v_lshl_or_b32 v30, v30, 9, 0x7c00
	v_or_b32_e32 v60, v64, v60
	s_or_b32 vcc_lo, s0, vcc_lo
	v_cndmask_b32_e64 v58, v79, v58, s15
	v_add_co_ci_u32_e32 v8, vcc_lo, 0, v8, vcc_lo
	s_or_b32 vcc_lo, s2, s1
	v_cmp_eq_u32_e64 s1, 0x40f, v19
	v_add_co_ci_u32_e32 v44, vcc_lo, 0, v44, vcc_lo
	s_or_b32 vcc_lo, s4, s3
	v_and_b32_e32 v62, 7, v58
	v_add_co_ci_u32_e32 v46, vcc_lo, 0, v46, vcc_lo
	s_or_b32 vcc_lo, s6, s5
	v_lshrrev_b32_e32 v58, 2, v58
	v_add_co_ci_u32_e32 v48, vcc_lo, 0, v48, vcc_lo
	s_or_b32 vcc_lo, s8, s7
	v_cmp_eq_u32_e64 s0, 3, v62
	v_add_co_ci_u32_e32 v50, vcc_lo, 0, v50, vcc_lo
	s_or_b32 vcc_lo, s10, s9
	v_lshrrev_b32_e32 v31, 16, v31
	v_add_co_ci_u32_e32 v52, vcc_lo, 0, v52, vcc_lo
	s_or_b32 vcc_lo, s12, s11
	v_add_co_ci_u32_e32 v54, vcc_lo, 0, v54, vcc_lo
	s_or_b32 vcc_lo, s14, s13
	v_add_co_ci_u32_e32 v56, vcc_lo, 0, v56, vcc_lo
	v_cmp_gt_i32_e32 vcc_lo, 31, v19
	v_cndmask_b32_e32 v8, 0x7c00, v8, vcc_lo
	v_cmp_gt_i32_e32 vcc_lo, 31, v45
	v_cndmask_b32_e64 v2, v8, v2, s1
	v_cndmask_b32_e32 v44, 0x7c00, v44, vcc_lo
	v_cmp_gt_i32_e32 vcc_lo, 31, v47
	v_cmp_eq_u32_e64 s1, 0x40f, v45
	v_and_or_b32 v2, 0x8000, v9, v2
	v_cndmask_b32_e32 v46, 0x7c00, v46, vcc_lo
	v_cmp_gt_i32_e32 vcc_lo, 31, v49
	v_cndmask_b32_e64 v8, v44, v14, s1
	v_cmp_eq_u32_e64 s1, 0x40f, v47
	v_and_b32_e32 v2, 0xffff, v2
	v_cndmask_b32_e32 v48, 0x7c00, v48, vcc_lo
	v_cmp_gt_i32_e32 vcc_lo, 31, v51
	v_cndmask_b32_e64 v14, v46, v17, s1
	v_cmp_eq_u32_e64 s1, 0x40f, v49
	v_and_or_b32 v8, 0x8000, v15, v8
	v_cndmask_b32_e32 v50, 0x7c00, v50, vcc_lo
	v_cmp_gt_i32_e32 vcc_lo, 31, v53
	v_cndmask_b32_e64 v17, v48, v24, s1
	v_cmp_eq_u32_e64 s1, 0x40f, v51
	v_and_or_b32 v9, 0x8000, v18, v14
	v_lshl_or_b32 v2, v8, 16, v2
	v_cndmask_b32_e32 v52, 0x7c00, v52, vcc_lo
	v_cmp_gt_i32_e32 vcc_lo, 31, v55
	v_cndmask_b32_e64 v6, v50, v6, s1
	v_cmp_eq_u32_e64 s1, 0x40f, v53
	v_and_or_b32 v14, 0x8000, v25, v17
	v_and_b32_e32 v9, 0xffff, v9
	v_cndmask_b32_e32 v54, 0x7c00, v54, vcc_lo
	v_cmp_gt_i32_e32 vcc_lo, 31, v57
	v_cndmask_b32_e64 v19, v52, v26, s1
	v_and_or_b32 v6, 0x8000, v7, v6
	v_lshl_or_b32 v8, v14, 16, v9
	v_cmp_eq_u32_e64 s1, 0x40f, v55
	v_cndmask_b32_e32 v56, 0x7c00, v56, vcc_lo
	v_cmp_lt_i32_e32 vcc_lo, 5, v62
	v_and_or_b32 v7, 0x8000, v27, v19
	v_and_b32_e32 v6, 0xffff, v6
	global_store_dword v[10:11], v2, off
	global_store_dword v[12:13], v8, off
	v_cndmask_b32_e64 v24, v54, v28, s1
	s_or_b32 vcc_lo, s0, vcc_lo
	v_cmp_eq_u32_e64 s1, 0x40f, v57
	v_add_co_ci_u32_e32 v9, vcc_lo, 0, v58, vcc_lo
	v_cmp_gt_i32_e32 vcc_lo, 1, v61
	v_lshl_or_b32 v14, v7, 16, v6
	v_and_or_b32 v6, 0x1ff, v39, v38
	v_cndmask_b32_e64 v26, v56, v30, s1
	v_and_or_b32 v15, 0x8000, v29, v24
	v_cndmask_b32_e32 v2, v89, v60, vcc_lo
	v_cmp_gt_i32_e32 vcc_lo, 31, v59
	v_lshl_or_b32 v8, v32, 9, 0x7c00
	v_and_or_b32 v17, 0x8000, v31, v26
	v_and_b32_e32 v15, 0xffff, v15
	v_lshrrev_b32_e32 v10, 8, v39
	v_cndmask_b32_e32 v7, 0x7c00, v9, vcc_lo
	v_cmp_ne_u32_e32 vcc_lo, 0, v6
	v_and_b32_e32 v9, 7, v2
	v_bfe_u32 v11, v39, 20, 11
	v_lshl_or_b32 v15, v17, 16, v15
	v_lshrrev_b32_e32 v2, 2, v2
	v_cndmask_b32_e64 v6, 0, 1, vcc_lo
	v_cmp_eq_u32_e32 vcc_lo, 0x40f, v59
	v_cmp_eq_u32_e64 s0, 3, v9
	v_lshrrev_b32_e32 v18, 16, v3
	global_store_dword v[21:22], v14, off
	global_store_dword v[40:41], v15, off
	v_and_or_b32 v17, 0xffe, v10, v6
	v_cndmask_b32_e32 v8, v7, v8, vcc_lo
	v_cmp_lt_i32_e32 vcc_lo, 5, v9
	v_mul_f64 v[6:7], v[42:43], s[16:17]
	v_sub_nc_u32_e32 v9, 0x3f1, v11
	v_or_b32_e32 v12, 0x1000, v17
	v_lshrrev_b32_e32 v10, 16, v33
	s_or_b32 vcc_lo, s0, vcc_lo
	s_waitcnt vmcnt(5)
	v_mul_f16_sdwa v24, v18, v36 dst_sel:DWORD dst_unused:UNUSED_PAD src0_sel:DWORD src1_sel:WORD_1
	v_add_co_ci_u32_e32 v2, vcc_lo, 0, v2, vcc_lo
	v_med3_i32 v9, v9, 0, 13
	v_cmp_ne_u32_e32 vcc_lo, 0, v34
	v_and_or_b32 v10, 0x8000, v10, v8
	v_fmac_f16_e32 v24, v3, v36
	v_mul_f16_sdwa v22, v3, v36 dst_sel:DWORD dst_unused:UNUSED_PAD src0_sel:DWORD src1_sel:WORD_1
	v_lshrrev_b32_e32 v19, v9, v12
	v_cndmask_b32_e64 v13, 0, 1, vcc_lo
	v_cmp_gt_i32_e32 vcc_lo, 31, v61
	v_and_b32_e32 v10, 0xffff, v10
	v_lshlrev_b32_e32 v8, v9, v19
	v_lshl_or_b32 v13, v13, 9, 0x7c00
	v_cndmask_b32_e32 v2, 0x7c00, v2, vcc_lo
	v_cmp_eq_u32_e32 vcc_lo, 0x40f, v61
	v_and_or_b32 v6, 0x1ff, v7, v6
	v_bfe_u32 v25, v7, 20, 11
	v_cndmask_b32_e32 v2, v2, v13, vcc_lo
	v_cmp_ne_u32_e32 vcc_lo, v8, v12
	v_cvt_f32_f16_e32 v8, v24
	v_lshrrev_b32_e32 v13, 16, v35
	v_add_nc_u32_e32 v24, 0xfffffc10, v11
	v_lshrrev_b32_e32 v11, 8, v7
	v_cndmask_b32_e64 v12, 0, 1, vcc_lo
	v_cmp_ne_u32_e32 vcc_lo, 0, v6
	v_cvt_f64_f32_e32 v[8:9], v8
	v_and_or_b32 v2, 0x8000, v13, v2
	v_lshl_or_b32 v13, v24, 12, v17
	v_or_b32_e32 v12, v19, v12
	v_cndmask_b32_e64 v6, 0, 1, vcc_lo
	v_cmp_gt_i32_e32 vcc_lo, 1, v24
	v_lshl_or_b32 v14, v2, 16, v10
	v_and_or_b32 v6, 0xffe, v11, v6
	v_sub_nc_u32_e32 v11, 0x3f1, v25
	v_cndmask_b32_e32 v12, v13, v12, vcc_lo
	v_add_co_u32 v10, vcc_lo, v40, s19
	v_or_b32_e32 v13, 0x1000, v6
	v_med3_i32 v19, v11, 0, 13
	v_and_b32_e32 v15, 7, v12
	v_add_co_ci_u32_e32 v11, vcc_lo, s18, v41, vcc_lo
	v_lshrrev_b32_e32 v12, 2, v12
	v_lshrrev_b32_e32 v21, v19, v13
	v_cmp_lt_i32_e32 vcc_lo, 5, v15
	v_mul_f64 v[2:3], v[8:9], s[16:17]
	v_cmp_eq_u32_e64 s0, 3, v15
	v_fma_f16 v9, v36, v18, -v22
	v_lshlrev_b32_e32 v8, v19, v21
	v_add_nc_u32_e32 v15, 0xfffffc10, v25
	global_store_dword v[10:11], v14, off
	s_or_b32 vcc_lo, s0, vcc_lo
	v_cvt_f32_f16_e32 v9, v9
	v_cmp_ne_u32_e64 s1, v8, v13
	v_add_co_ci_u32_e32 v18, vcc_lo, 0, v12, vcc_lo
	v_cmp_ne_u32_e32 vcc_lo, 0, v17
	v_add_nc_u32_e32 v13, 0x1000, v37
	v_cndmask_b32_e64 v8, 0, 1, s1
	v_cndmask_b32_e64 v17, 0, 1, vcc_lo
	v_cmp_gt_i32_e32 vcc_lo, 1, v15
	v_or_b32_e32 v19, v21, v8
	v_cvt_f64_f32_e32 v[8:9], v9
	v_lshl_or_b32 v21, v15, 12, v6
	ds_read2_b32 v[12:13], v13 offset0:26 offset1:176
	v_and_or_b32 v2, 0x1ff, v3, v2
	v_lshl_or_b32 v17, v17, 9, 0x7c00
	v_lshrrev_b32_e32 v22, 8, v3
	v_cndmask_b32_e32 v19, v21, v19, vcc_lo
	v_cmp_gt_i32_e32 vcc_lo, 31, v24
	v_bfe_u32 v25, v3, 20, 11
	v_and_b32_e32 v21, 7, v19
	v_cndmask_b32_e32 v18, 0x7c00, v18, vcc_lo
	v_cmp_ne_u32_e32 vcc_lo, 0, v2
	v_lshrrev_b32_e32 v19, 2, v19
	v_cmp_eq_u32_e64 s0, 3, v21
	v_cndmask_b32_e64 v2, 0, 1, vcc_lo
	v_cmp_eq_u32_e32 vcc_lo, 0x40f, v24
	v_mul_f64 v[8:9], v[8:9], s[16:17]
	v_and_or_b32 v2, 0xffe, v22, v2
	v_cndmask_b32_e32 v17, v18, v17, vcc_lo
	v_cmp_lt_i32_e32 vcc_lo, 5, v21
	v_sub_nc_u32_e32 v22, 0x3f1, v25
	s_waitcnt lgkmcnt(0)
	v_lshrrev_b32_e32 v24, 16, v12
	v_or_b32_e32 v21, 0x1000, v2
	v_lshrrev_b32_e32 v18, 16, v39
	s_or_b32 vcc_lo, s0, vcc_lo
	v_med3_i32 v22, v22, 0, 13
	v_add_co_ci_u32_e32 v19, vcc_lo, 0, v19, vcc_lo
	v_cmp_ne_u32_e32 vcc_lo, 0, v6
	s_waitcnt vmcnt(4)
	v_mul_f16_sdwa v26, v24, v23 dst_sel:DWORD dst_unused:UNUSED_PAD src0_sel:DWORD src1_sel:WORD_1
	v_lshrrev_b32_e32 v27, v22, v21
	v_and_or_b32 v17, 0x8000, v18, v17
	v_cndmask_b32_e64 v6, 0, 1, vcc_lo
	v_cmp_gt_i32_e32 vcc_lo, 31, v15
	v_fmac_f16_e32 v26, v12, v23
	v_lshlrev_b32_e32 v18, v22, v27
	v_mul_f16_sdwa v12, v12, v23 dst_sel:DWORD dst_unused:UNUSED_PAD src0_sel:DWORD src1_sel:WORD_1
	v_lshl_or_b32 v6, v6, 9, 0x7c00
	v_cndmask_b32_e32 v19, 0x7c00, v19, vcc_lo
	v_cmp_eq_u32_e32 vcc_lo, 0x40f, v15
	v_cvt_f32_f16_e32 v22, v26
	v_and_or_b32 v8, 0x1ff, v9, v8
	v_and_b32_e32 v17, 0xffff, v17
	v_fma_f16 v12, v23, v24, -v12
	v_cndmask_b32_e32 v15, v19, v6, vcc_lo
	v_cmp_ne_u32_e32 vcc_lo, v18, v21
	v_lshrrev_b32_e32 v19, 16, v7
	v_cvt_f64_f32_e32 v[6:7], v22
	v_add_nc_u32_e32 v21, 0xfffffc10, v25
	v_lshrrev_b32_e32 v22, 8, v9
	v_cndmask_b32_e64 v18, 0, 1, vcc_lo
	v_cmp_ne_u32_e32 vcc_lo, 0, v8
	v_bfe_u32 v25, v9, 20, 11
	v_and_or_b32 v15, 0x8000, v19, v15
	v_lshl_or_b32 v19, v21, 12, v2
	v_or_b32_e32 v18, v27, v18
	v_cndmask_b32_e64 v8, 0, 1, vcc_lo
	v_cmp_gt_i32_e32 vcc_lo, 1, v21
	v_lshl_or_b32 v17, v15, 16, v17
	v_cvt_f32_f16_e32 v12, v12
	v_lshrrev_b32_e32 v24, 16, v3
	v_and_or_b32 v8, 0xffe, v22, v8
	v_sub_nc_u32_e32 v22, 0x3f1, v25
	v_cndmask_b32_e32 v18, v19, v18, vcc_lo
	v_add_co_u32 v10, vcc_lo, v10, s19
	v_or_b32_e32 v19, 0x1000, v8
	v_med3_i32 v22, v22, 0, 13
	v_and_b32_e32 v14, 7, v18
	v_mul_f64 v[6:7], v[6:7], s[16:17]
	v_add_co_ci_u32_e32 v11, vcc_lo, s18, v11, vcc_lo
	v_lshrrev_b32_e32 v26, v22, v19
	v_cmp_lt_i32_e32 vcc_lo, 5, v14
	v_cmp_eq_u32_e64 s0, 3, v14
	v_lshrrev_b32_e32 v18, 2, v18
	v_lshrrev_b32_e32 v9, 16, v9
	v_lshlrev_b32_e32 v15, v22, v26
	v_add_nc_u32_e32 v22, 0xfffffc10, v25
	s_or_b32 vcc_lo, s0, vcc_lo
	global_store_dword v[10:11], v17, off
	v_cmp_ne_u32_e64 s1, v15, v19
	v_cvt_f64_f32_e32 v[14:15], v12
	v_add_co_ci_u32_e32 v12, vcc_lo, 0, v18, vcc_lo
	v_cmp_ne_u32_e32 vcc_lo, 0, v2
	v_cndmask_b32_e64 v19, 0, 1, s1
	v_cndmask_b32_e64 v2, 0, 1, vcc_lo
	v_cmp_gt_i32_e32 vcc_lo, 31, v21
	v_or_b32_e32 v18, v26, v19
	v_lshl_or_b32 v19, v22, 12, v8
	v_and_or_b32 v6, 0x1ff, v7, v6
	v_lshl_or_b32 v2, v2, 9, 0x7c00
	v_cndmask_b32_e32 v12, 0x7c00, v12, vcc_lo
	v_cmp_gt_i32_e32 vcc_lo, 1, v22
	v_bfe_u32 v23, v7, 20, 11
	v_cndmask_b32_e32 v18, v19, v18, vcc_lo
	v_cmp_ne_u32_e32 vcc_lo, 0, v6
	v_lshrrev_b32_e32 v19, 8, v7
	v_cndmask_b32_e64 v6, 0, 1, vcc_lo
	v_cmp_eq_u32_e32 vcc_lo, 0x40f, v21
	v_and_b32_e32 v21, 7, v18
	v_and_or_b32 v6, 0xffe, v19, v6
	v_cndmask_b32_e32 v12, v12, v2, vcc_lo
	v_cmp_lt_i32_e32 vcc_lo, 5, v21
	v_cmp_eq_u32_e64 s0, 3, v21
	v_mul_f64 v[2:3], v[14:15], s[16:17]
	v_lshrrev_b32_e32 v14, 2, v18
	v_sub_nc_u32_e32 v19, 0x3f1, v23
	v_or_b32_e32 v15, 0x1000, v6
	s_or_b32 vcc_lo, s0, vcc_lo
	v_and_or_b32 v12, 0x8000, v24, v12
	v_add_co_ci_u32_e32 v14, vcc_lo, 0, v14, vcc_lo
	v_med3_i32 v18, v19, 0, 13
	v_cmp_ne_u32_e32 vcc_lo, 0, v8
	v_lshrrev_b32_e32 v19, 16, v13
	v_and_b32_e32 v12, 0xffff, v12
	v_lshrrev_b32_e32 v21, v18, v15
	v_cndmask_b32_e64 v8, 0, 1, vcc_lo
	v_cmp_gt_i32_e32 vcc_lo, 31, v22
	s_waitcnt vmcnt(3)
	v_mul_f16_sdwa v25, v19, v20 dst_sel:DWORD dst_unused:UNUSED_PAD src0_sel:DWORD src1_sel:WORD_1
	v_lshlrev_b32_e32 v18, v18, v21
	v_lshl_or_b32 v8, v8, 9, 0x7c00
	v_cndmask_b32_e32 v14, 0x7c00, v14, vcc_lo
	v_cmp_eq_u32_e32 vcc_lo, 0x40f, v22
	v_and_or_b32 v2, 0x1ff, v3, v2
	v_fmac_f16_e32 v25, v13, v20
	v_add_nc_u32_e32 v22, 0xfffffc10, v23
	v_lshrrev_b32_e32 v23, 8, v3
	v_cndmask_b32_e32 v8, v14, v8, vcc_lo
	v_cmp_ne_u32_e32 vcc_lo, v18, v15
	v_cvt_f32_f16_e32 v14, v25
	v_bfe_u32 v24, v3, 20, 11
	v_mul_f16_sdwa v13, v13, v20 dst_sel:DWORD dst_unused:UNUSED_PAD src0_sel:DWORD src1_sel:WORD_1
	v_and_or_b32 v8, 0x8000, v9, v8
	v_cndmask_b32_e64 v18, 0, 1, vcc_lo
	v_cmp_ne_u32_e32 vcc_lo, 0, v2
	v_cvt_f64_f32_e32 v[14:15], v14
	v_lshrrev_b32_e32 v3, 16, v3
	v_lshl_or_b32 v25, v8, 16, v12
	v_or_b32_e32 v18, v21, v18
	v_cndmask_b32_e64 v2, 0, 1, vcc_lo
	v_lshl_or_b32 v21, v22, 12, v6
	v_cmp_gt_i32_e32 vcc_lo, 1, v22
	v_fma_f16 v12, v20, v19, -v13
	v_add_nc_u32_e32 v20, 0xfffffc10, v24
	v_and_or_b32 v2, 0xffe, v23, v2
	v_sub_nc_u32_e32 v23, 0x3f1, v24
	v_cndmask_b32_e32 v18, v21, v18, vcc_lo
	v_or_b32_e32 v21, 0x1000, v2
	v_med3_i32 v9, v23, 0, 13
	v_and_b32_e32 v23, 7, v18
	v_lshrrev_b32_e32 v18, 2, v18
	v_lshrrev_b32_e32 v17, v9, v21
	v_cmp_lt_i32_e32 vcc_lo, 5, v23
	v_cmp_eq_u32_e64 s0, 3, v23
	v_lshlrev_b32_e32 v13, v9, v17
	v_mul_f64 v[8:9], v[14:15], s[16:17]
	v_add_nc_u32_e32 v14, 0x1400, v37
	v_cvt_f32_f16_e32 v15, v12
	s_or_b32 vcc_lo, s0, vcc_lo
	v_cmp_ne_u32_e64 s1, v13, v21
	v_add_co_ci_u32_e32 v18, vcc_lo, 0, v18, vcc_lo
	ds_read2_b32 v[12:13], v14 offset0:70 offset1:220
	v_add_co_u32 v10, vcc_lo, v10, s19
	v_cndmask_b32_e64 v19, 0, 1, s1
	v_add_co_ci_u32_e32 v11, vcc_lo, s18, v11, vcc_lo
	v_cmp_gt_i32_e32 vcc_lo, 1, v20
	v_cvt_f64_f32_e32 v[14:15], v15
	v_or_b32_e32 v17, v17, v19
	v_lshl_or_b32 v19, v20, 12, v2
	global_store_dword v[10:11], v25, off
	v_cndmask_b32_e32 v17, v19, v17, vcc_lo
	v_cmp_gt_i32_e32 vcc_lo, 31, v22
	v_and_or_b32 v8, 0x1ff, v9, v8
	v_lshrrev_b32_e32 v23, 8, v9
	v_bfe_u32 v24, v9, 20, 11
	v_cndmask_b32_e32 v19, 0x7c00, v18, vcc_lo
	v_cmp_ne_u32_e32 vcc_lo, 0, v6
	s_waitcnt lgkmcnt(0)
	v_lshrrev_b32_e32 v21, 16, v12
	v_and_b32_e32 v18, 7, v17
	v_lshrrev_b32_e32 v17, 2, v17
	v_cndmask_b32_e64 v6, 0, 1, vcc_lo
	v_cmp_ne_u32_e32 vcc_lo, 0, v8
	s_waitcnt vmcnt(2)
	v_mul_f16_sdwa v26, v21, v16 dst_sel:DWORD dst_unused:UNUSED_PAD src0_sel:DWORD src1_sel:WORD_1
	v_cmp_eq_u32_e64 s0, 3, v18
	v_mul_f64 v[14:15], v[14:15], s[16:17]
	v_lshl_or_b32 v6, v6, 9, 0x7c00
	v_cndmask_b32_e64 v8, 0, 1, vcc_lo
	v_cmp_lt_i32_e32 vcc_lo, 5, v18
	v_fmac_f16_e32 v26, v12, v16
	v_and_or_b32 v8, 0xffe, v23, v8
	v_sub_nc_u32_e32 v23, 0x3f1, v24
	s_or_b32 vcc_lo, s0, vcc_lo
	v_cvt_f32_f16_e32 v18, v26
	v_add_co_ci_u32_e32 v26, vcc_lo, 0, v17, vcc_lo
	v_or_b32_e32 v27, 0x1000, v8
	v_med3_i32 v23, v23, 0, 13
	v_cmp_eq_u32_e32 vcc_lo, 0x40f, v22
	v_cvt_f64_f32_e32 v[17:18], v18
	v_lshrrev_b32_e32 v22, 16, v7
	v_lshrrev_b32_e32 v28, v23, v27
	v_cndmask_b32_e32 v19, v19, v6, vcc_lo
	v_cmp_gt_i32_e32 vcc_lo, 31, v20
	v_and_or_b32 v7, 0x1ff, v15, v14
	v_add_nc_u32_e32 v14, 0xfffffc10, v24
	v_lshlrev_b32_e32 v6, v23, v28
	v_lshrrev_b32_e32 v24, 8, v15
	v_cndmask_b32_e32 v23, 0x7c00, v26, vcc_lo
	v_cmp_ne_u32_e32 vcc_lo, 0, v2
	v_bfe_u32 v26, v15, 20, 11
	v_and_or_b32 v19, 0x8000, v22, v19
	v_lshrrev_b32_e32 v15, 16, v15
	v_cndmask_b32_e64 v2, 0, 1, vcc_lo
	v_cmp_ne_u32_e32 vcc_lo, v6, v27
	v_sub_nc_u32_e32 v29, 0x3f1, v26
	v_and_b32_e32 v19, 0xffff, v19
	v_lshl_or_b32 v2, v2, 9, 0x7c00
	v_cndmask_b32_e64 v6, 0, 1, vcc_lo
	v_cmp_ne_u32_e32 vcc_lo, 0, v7
	v_or_b32_e32 v27, v28, v6
	v_cndmask_b32_e64 v7, 0, 1, vcc_lo
	v_cmp_eq_u32_e32 vcc_lo, 0x40f, v20
	v_lshl_or_b32 v28, v14, 12, v8
	v_and_or_b32 v24, 0xffe, v24, v7
	v_mul_f64 v[6:7], v[17:18], s[16:17]
	v_cndmask_b32_e32 v2, v23, v2, vcc_lo
	v_cmp_gt_i32_e32 vcc_lo, 1, v14
	v_med3_i32 v18, v29, 0, 13
	v_or_b32_e32 v17, 0x1000, v24
	v_and_or_b32 v25, 0x8000, v3, v2
	v_cndmask_b32_e32 v20, v28, v27, vcc_lo
	v_mul_f16_sdwa v2, v12, v16 dst_sel:DWORD dst_unused:UNUSED_PAD src0_sel:DWORD src1_sel:WORD_1
	v_lshrrev_b32_e32 v22, v18, v17
	v_lshl_or_b32 v19, v25, 16, v19
	v_and_b32_e32 v23, 7, v20
	v_lshrrev_b32_e32 v12, 2, v20
	v_lshlrev_b32_e32 v3, v18, v22
	v_fma_f16 v2, v16, v21, -v2
	v_add_nc_u32_e32 v16, 0xfffffc10, v26
	v_cmp_lt_i32_e32 vcc_lo, 5, v23
	v_cmp_eq_u32_e64 s0, 3, v23
	v_cmp_ne_u32_e64 s1, v3, v17
	v_cvt_f32_f16_e32 v2, v2
	v_lshl_or_b32 v18, v16, 12, v24
	v_and_or_b32 v6, 0x1ff, v7, v6
	s_or_b32 vcc_lo, s0, vcc_lo
	v_cndmask_b32_e64 v3, 0, 1, s1
	v_add_co_ci_u32_e32 v12, vcc_lo, 0, v12, vcc_lo
	v_cmp_ne_u32_e32 vcc_lo, 0, v6
	v_lshrrev_b32_e32 v20, 8, v7
	v_or_b32_e32 v17, v22, v3
	v_cvt_f64_f32_e32 v[2:3], v2
	v_bfe_u32 v21, v7, 20, 11
	v_cndmask_b32_e64 v6, 0, 1, vcc_lo
	v_cmp_ne_u32_e32 vcc_lo, 0, v8
	v_add_co_u32 v10, s1, v10, s19
	v_add_co_ci_u32_e64 v11, s1, s18, v11, s1
	v_cndmask_b32_e64 v8, 0, 1, vcc_lo
	v_cmp_gt_i32_e32 vcc_lo, 1, v16
	v_and_or_b32 v6, 0xffe, v20, v6
	v_lshl_or_b32 v8, v8, 9, 0x7c00
	v_cndmask_b32_e32 v17, v18, v17, vcc_lo
	v_cmp_gt_i32_e32 vcc_lo, 31, v14
	v_sub_nc_u32_e32 v18, 0x3f1, v21
	v_or_b32_e32 v22, 0x1000, v6
	v_add_nc_u32_e32 v21, 0xfffffc10, v21
	v_and_b32_e32 v20, 7, v17
	v_cndmask_b32_e32 v12, 0x7c00, v12, vcc_lo
	v_cmp_eq_u32_e32 vcc_lo, 0x40f, v14
	v_med3_i32 v18, v18, 0, 13
	v_lshrrev_b32_e32 v14, 16, v13
	v_cmp_eq_u32_e64 s0, 3, v20
	v_mul_f64 v[2:3], v[2:3], s[16:17]
	v_cndmask_b32_e32 v12, v12, v8, vcc_lo
	v_cmp_lt_i32_e32 vcc_lo, 5, v20
	v_lshrrev_b32_e32 v20, 16, v9
	v_lshrrev_b32_e32 v9, 2, v17
	v_lshrrev_b32_e32 v8, v18, v22
	s_waitcnt vmcnt(1)
	v_mul_f16_sdwa v17, v14, v5 dst_sel:DWORD dst_unused:UNUSED_PAD src0_sel:DWORD src1_sel:WORD_1
	s_or_b32 vcc_lo, s0, vcc_lo
	v_and_or_b32 v12, 0x8000, v20, v12
	v_add_co_ci_u32_e32 v9, vcc_lo, 0, v9, vcc_lo
	v_lshlrev_b32_e32 v18, v18, v8
	v_cmp_ne_u32_e32 vcc_lo, 0, v24
	v_fmac_f16_e32 v17, v13, v5
	v_and_b32_e32 v12, 0xffff, v12
	v_mul_f16_sdwa v24, v13, v5 dst_sel:DWORD dst_unused:UNUSED_PAD src0_sel:DWORD src1_sel:WORD_1
	v_cndmask_b32_e64 v23, 0, 1, vcc_lo
	v_cmp_ne_u32_e32 vcc_lo, v18, v22
	v_cvt_f32_f16_e32 v17, v17
	v_fma_f16 v5, v5, v14, -v24
	v_lshl_or_b32 v23, v23, 9, 0x7c00
	v_cndmask_b32_e64 v18, 0, 1, vcc_lo
	v_cmp_gt_i32_e32 vcc_lo, 31, v16
	v_and_or_b32 v2, 0x1ff, v3, v2
	v_cvt_f32_f16_e32 v5, v5
	v_or_b32_e32 v18, v8, v18
	v_cndmask_b32_e32 v22, 0x7c00, v9, vcc_lo
	v_cmp_eq_u32_e32 vcc_lo, 0x40f, v16
	v_cvt_f64_f32_e32 v[8:9], v17
	v_lshl_or_b32 v17, v21, 12, v6
	v_cndmask_b32_e32 v16, v22, v23, vcc_lo
	v_cmp_gt_i32_e32 vcc_lo, 1, v21
	v_bfe_u32 v22, v3, 20, 11
	v_and_or_b32 v15, 0x8000, v15, v16
	v_cndmask_b32_e32 v17, v17, v18, vcc_lo
	v_cmp_ne_u32_e32 vcc_lo, 0, v2
	v_lshrrev_b32_e32 v18, 8, v3
	v_sub_nc_u32_e32 v16, 0x3f1, v22
	v_and_b32_e32 v20, 7, v17
	v_cndmask_b32_e64 v2, 0, 1, vcc_lo
	v_lshrrev_b32_e32 v17, 2, v17
	v_med3_i32 v16, v16, 0, 13
	v_cmp_lt_i32_e32 vcc_lo, 5, v20
	v_and_or_b32 v2, 0xffe, v18, v2
	v_cmp_eq_u32_e64 s0, 3, v20
	v_mul_f64 v[8:9], v[8:9], s[16:17]
	v_lshl_or_b32 v20, v15, 16, v12
	v_or_b32_e32 v18, 0x1000, v2
	s_or_b32 vcc_lo, s0, vcc_lo
	v_add_co_ci_u32_e32 v12, vcc_lo, 0, v17, vcc_lo
	v_lshrrev_b32_e32 v15, v16, v18
	v_cmp_ne_u32_e32 vcc_lo, 0, v6
	v_add_nc_u32_e32 v17, 0x1900, v37
	v_lshlrev_b32_e32 v16, v16, v15
	v_cndmask_b32_e64 v6, 0, 1, vcc_lo
	v_cmp_gt_i32_e32 vcc_lo, 31, v21
	v_lshl_or_b32 v6, v6, 9, 0x7c00
	v_cndmask_b32_e32 v23, 0x7c00, v12, vcc_lo
	v_cmp_ne_u32_e32 vcc_lo, v16, v18
	ds_read2_b32 v[12:13], v17 offset0:50 offset1:200
	v_and_or_b32 v8, 0x1ff, v9, v8
	v_add_nc_u32_e32 v17, 0xfffffc10, v22
	v_lshrrev_b32_e32 v18, 8, v9
	v_cndmask_b32_e64 v16, 0, 1, vcc_lo
	v_cmp_eq_u32_e32 vcc_lo, 0x40f, v21
	v_bfe_u32 v21, v9, 20, 11
	v_lshrrev_b32_e32 v22, 16, v7
	v_lshrrev_b32_e32 v9, 16, v9
	v_or_b32_e32 v15, v15, v16
	v_cndmask_b32_e32 v14, v23, v6, vcc_lo
	v_cmp_ne_u32_e32 vcc_lo, 0, v8
	v_lshl_or_b32 v16, v17, 12, v2
	v_cvt_f64_f32_e32 v[5:6], v5
	v_and_or_b32 v22, 0x8000, v22, v14
	v_cndmask_b32_e64 v8, 0, 1, vcc_lo
	v_cmp_gt_i32_e32 vcc_lo, 1, v17
	v_and_b32_e32 v22, 0xffff, v22
	v_cndmask_b32_e32 v15, v16, v15, vcc_lo
	v_and_or_b32 v16, 0xffe, v18, v8
	v_sub_nc_u32_e32 v8, 0x3f1, v21
	s_waitcnt lgkmcnt(0)
	v_lshrrev_b32_e32 v18, 16, v12
	v_add_co_u32 v7, vcc_lo, v10, s19
	v_or_b32_e32 v24, 0x1000, v16
	v_med3_i32 v25, v8, 0, 13
	v_and_b32_e32 v23, 7, v15
	s_waitcnt vmcnt(0)
	v_mul_f16_sdwa v26, v18, v4 dst_sel:DWORD dst_unused:UNUSED_PAD src0_sel:DWORD src1_sel:WORD_1
	v_add_co_ci_u32_e32 v8, vcc_lo, s18, v11, vcc_lo
	v_lshrrev_b32_e32 v27, v25, v24
	v_cmp_lt_i32_e32 vcc_lo, 5, v23
	v_cmp_eq_u32_e64 s0, 3, v23
	v_fmac_f16_e32 v26, v12, v4
	v_lshrrev_b32_e32 v14, 2, v15
	v_lshlrev_b32_e32 v23, v25, v27
	v_mul_f64 v[5:6], v[5:6], s[16:17]
	s_or_b32 vcc_lo, s0, vcc_lo
	v_cvt_f32_f16_e32 v15, v26
	v_add_co_ci_u32_e32 v25, vcc_lo, 0, v14, vcc_lo
	v_cmp_ne_u32_e32 vcc_lo, v23, v24
	v_add_nc_u32_e32 v21, 0xfffffc10, v21
	v_cvt_f64_f32_e32 v[14:15], v15
	v_mul_f16_sdwa v12, v12, v4 dst_sel:DWORD dst_unused:UNUSED_PAD src0_sel:DWORD src1_sel:WORD_1
	v_cndmask_b32_e64 v23, 0, 1, vcc_lo
	v_cmp_ne_u32_e32 vcc_lo, 0, v2
	v_lshl_or_b32 v24, v21, 12, v16
	v_fma_f16 v4, v4, v18, -v12
	v_or_b32_e32 v23, v27, v23
	v_cndmask_b32_e64 v2, 0, 1, vcc_lo
	v_cmp_gt_i32_e32 vcc_lo, 31, v17
	v_cvt_f32_f16_e32 v4, v4
	v_lshl_or_b32 v2, v2, 9, 0x7c00
	v_cndmask_b32_e32 v12, 0x7c00, v25, vcc_lo
	v_cmp_gt_i32_e32 vcc_lo, 1, v21
	v_cndmask_b32_e32 v18, v24, v23, vcc_lo
	v_cmp_eq_u32_e32 vcc_lo, 0x40f, v17
	v_and_or_b32 v17, 0x1ff, v6, v5
	v_lshrrev_b32_e32 v23, 16, v3
	v_and_b32_e32 v24, 7, v18
	v_cndmask_b32_e32 v12, v12, v2, vcc_lo
	v_cvt_f64_f32_e32 v[2:3], v4
	v_mul_f64 v[4:5], v[14:15], s[16:17]
	v_cmp_ne_u32_e32 vcc_lo, 0, v17
	v_lshrrev_b32_e32 v15, 8, v6
	v_bfe_u32 v17, v6, 20, 11
	v_cmp_eq_u32_e64 s0, 3, v24
	v_lshrrev_b32_e32 v18, 2, v18
	v_cndmask_b32_e64 v14, 0, 1, vcc_lo
	v_cmp_lt_i32_e32 vcc_lo, 5, v24
	v_and_or_b32 v12, 0x8000, v23, v12
	v_lshrrev_b32_e32 v6, 16, v6
	v_and_or_b32 v14, 0xffe, v15, v14
	v_sub_nc_u32_e32 v15, 0x3f1, v17
	s_or_b32 vcc_lo, s0, vcc_lo
	v_lshl_or_b32 v12, v12, 16, v22
	v_add_co_ci_u32_e32 v18, vcc_lo, 0, v18, vcc_lo
	v_or_b32_e32 v22, 0x1000, v14
	v_med3_i32 v15, v15, 0, 13
	v_cmp_ne_u32_e32 vcc_lo, 0, v16
	v_add_nc_u32_e32 v17, 0xfffffc10, v17
	v_mul_f64 v[2:3], v[2:3], s[16:17]
	v_and_or_b32 v4, 0x1ff, v5, v4
	v_lshrrev_b32_e32 v23, v15, v22
	v_cndmask_b32_e64 v16, 0, 1, vcc_lo
	v_cmp_gt_i32_e32 vcc_lo, 31, v21
	v_lshrrev_b32_e32 v24, 8, v5
	v_bfe_u32 v25, v5, 20, 11
	v_lshlrev_b32_e32 v15, v15, v23
	v_lshl_or_b32 v16, v16, 9, 0x7c00
	v_cndmask_b32_e32 v18, 0x7c00, v18, vcc_lo
	v_cmp_ne_u32_e32 vcc_lo, 0, v4
	v_lshrrev_b32_e32 v5, 16, v5
	v_cndmask_b32_e64 v4, 0, 1, vcc_lo
	v_cmp_ne_u32_e32 vcc_lo, v15, v22
	v_sub_nc_u32_e32 v22, 0x3f1, v25
	v_and_or_b32 v4, 0xffe, v24, v4
	v_cndmask_b32_e64 v15, 0, 1, vcc_lo
	v_cmp_eq_u32_e32 vcc_lo, 0x40f, v21
	v_med3_i32 v22, v22, 0, 13
	v_and_or_b32 v2, 0x1ff, v3, v2
	v_or_b32_e32 v21, 0x1000, v4
	v_or_b32_e32 v15, v23, v15
	v_cndmask_b32_e32 v16, v18, v16, vcc_lo
	v_lshl_or_b32 v18, v17, 12, v14
	v_cmp_gt_i32_e32 vcc_lo, 1, v17
	v_lshrrev_b32_e32 v23, 8, v3
	v_bfe_u32 v24, v3, 20, 11
	v_and_or_b32 v9, 0x8000, v9, v16
	v_cndmask_b32_e32 v15, v18, v15, vcc_lo
	v_lshrrev_b32_e32 v18, v22, v21
	v_cmp_ne_u32_e32 vcc_lo, 0, v2
	v_sub_nc_u32_e32 v16, 0x3f1, v24
	v_and_b32_e32 v9, 0xffff, v9
	v_and_b32_e32 v26, 7, v15
	v_lshlrev_b32_e32 v22, v22, v18
	v_cndmask_b32_e64 v2, 0, 1, vcc_lo
	v_lshrrev_b32_e32 v15, 2, v15
	v_med3_i32 v16, v16, 0, 13
	v_cmp_lt_i32_e32 vcc_lo, 5, v26
	v_cmp_ne_u32_e64 s0, v22, v21
	v_and_or_b32 v2, 0xffe, v23, v2
	v_add_nc_u32_e32 v23, 0xfffffc10, v25
	v_cndmask_b32_e64 v21, 0, 1, s0
	v_cmp_eq_u32_e64 s0, 3, v26
	v_or_b32_e32 v22, 0x1000, v2
	v_lshl_or_b32 v25, v23, 12, v4
	v_or_b32_e32 v18, v18, v21
	s_or_b32 vcc_lo, s0, vcc_lo
	v_lshrrev_b32_e32 v21, v16, v22
	v_add_co_ci_u32_e32 v15, vcc_lo, 0, v15, vcc_lo
	v_cmp_gt_i32_e32 vcc_lo, 1, v23
	v_lshlrev_b32_e32 v16, v16, v21
	v_cndmask_b32_e32 v18, v25, v18, vcc_lo
	v_cmp_ne_u32_e32 vcc_lo, 0, v14
	v_cndmask_b32_e64 v14, 0, 1, vcc_lo
	v_cmp_ne_u32_e32 vcc_lo, v16, v22
	v_add_nc_u32_e32 v22, 0xfffffc10, v24
	v_and_b32_e32 v24, 7, v18
	v_lshl_or_b32 v14, v14, 9, 0x7c00
	v_cndmask_b32_e64 v16, 0, 1, vcc_lo
	v_cmp_gt_i32_e32 vcc_lo, 31, v17
	v_cmp_gt_i32_e64 s1, 1, v22
	v_cmp_eq_u32_e64 s0, 3, v24
	v_or_b32_e32 v16, v21, v16
	v_lshl_or_b32 v21, v22, 12, v2
	v_cndmask_b32_e32 v15, 0x7c00, v15, vcc_lo
	v_cmp_lt_i32_e32 vcc_lo, 5, v24
	v_cndmask_b32_e64 v16, v21, v16, s1
	v_cmp_eq_u32_e64 s1, 0x40f, v17
	s_or_b32 vcc_lo, s0, vcc_lo
	v_and_b32_e32 v17, 7, v16
	v_cndmask_b32_e64 v14, v15, v14, s1
	v_lshrrev_b32_e32 v15, 2, v18
	v_lshrrev_b32_e32 v16, 2, v16
	v_cmp_gt_i32_e64 s1, 31, v23
	v_cmp_eq_u32_e64 s0, 3, v17
	v_and_or_b32 v6, 0x8000, v6, v14
	v_add_co_ci_u32_e32 v15, vcc_lo, 0, v15, vcc_lo
	v_cmp_ne_u32_e32 vcc_lo, 0, v4
	v_lshrrev_b32_e32 v14, 16, v3
	v_lshl_or_b32 v6, v6, 16, v9
	v_cndmask_b32_e64 v15, 0x7c00, v15, s1
	v_cndmask_b32_e64 v4, 0, 1, vcc_lo
	v_cmp_lt_i32_e32 vcc_lo, 5, v17
	v_lshl_or_b32 v4, v4, 9, 0x7c00
	s_or_b32 vcc_lo, s0, vcc_lo
	v_add_co_ci_u32_e32 v16, vcc_lo, 0, v16, vcc_lo
	v_cmp_ne_u32_e32 vcc_lo, 0, v2
	v_cndmask_b32_e64 v2, 0, 1, vcc_lo
	v_cmp_eq_u32_e32 vcc_lo, 0x40f, v23
	v_lshl_or_b32 v2, v2, 9, 0x7c00
	v_cndmask_b32_e32 v4, v15, v4, vcc_lo
	v_cmp_gt_i32_e32 vcc_lo, 31, v22
	v_and_or_b32 v4, 0x8000, v5, v4
	v_cndmask_b32_e32 v15, 0x7c00, v16, vcc_lo
	v_cmp_eq_u32_e32 vcc_lo, 0x40f, v22
	v_cndmask_b32_e32 v5, v15, v2, vcc_lo
	v_add_co_u32 v2, vcc_lo, v7, s19
	v_add_co_ci_u32_e32 v3, vcc_lo, s18, v8, vcc_lo
	v_and_or_b32 v9, 0x8000, v14, v5
	v_and_b32_e32 v14, 0xffff, v4
	v_add_co_u32 v4, vcc_lo, v2, s19
	v_add_co_ci_u32_e32 v5, vcc_lo, s18, v3, vcc_lo
	v_lshl_or_b32 v9, v9, 16, v14
	v_add_co_u32 v14, vcc_lo, v4, s19
	v_add_co_ci_u32_e32 v15, vcc_lo, s18, v5, vcc_lo
	global_store_dword v[10:11], v19, off
	global_store_dword v[7:8], v20, off
	;; [unrolled: 1-line block ×5, first 2 shown]
	global_load_dword v0, v[0:1], off offset:1056
	v_lshrrev_b32_e32 v1, 16, v13
	s_waitcnt vmcnt(0)
	v_mul_f16_sdwa v2, v1, v0 dst_sel:DWORD dst_unused:UNUSED_PAD src0_sel:DWORD src1_sel:WORD_1
	v_mul_f16_sdwa v3, v13, v0 dst_sel:DWORD dst_unused:UNUSED_PAD src0_sel:DWORD src1_sel:WORD_1
	v_fmac_f16_e32 v2, v13, v0
	v_fma_f16 v0, v0, v1, -v3
	v_cvt_f32_f16_e32 v1, v2
	v_cvt_f32_f16_e32 v2, v0
	v_cvt_f64_f32_e32 v[0:1], v1
	v_cvt_f64_f32_e32 v[2:3], v2
	v_mul_f64 v[0:1], v[0:1], s[16:17]
	v_mul_f64 v[2:3], v[2:3], s[16:17]
	v_and_or_b32 v0, 0x1ff, v1, v0
	v_and_or_b32 v2, 0x1ff, v3, v2
	v_lshrrev_b32_e32 v4, 8, v1
	v_bfe_u32 v5, v1, 20, 11
	v_lshrrev_b32_e32 v6, 8, v3
	v_cmp_ne_u32_e32 vcc_lo, 0, v0
	v_bfe_u32 v7, v3, 20, 11
	v_lshrrev_b32_e32 v1, 16, v1
	v_lshrrev_b32_e32 v3, 16, v3
	v_cndmask_b32_e64 v0, 0, 1, vcc_lo
	v_cmp_ne_u32_e32 vcc_lo, 0, v2
	v_and_or_b32 v0, 0xffe, v4, v0
	v_cndmask_b32_e64 v2, 0, 1, vcc_lo
	v_sub_nc_u32_e32 v4, 0x3f1, v5
	v_add_nc_u32_e32 v5, 0xfffffc10, v5
	v_or_b32_e32 v8, 0x1000, v0
	v_and_or_b32 v2, 0xffe, v6, v2
	v_sub_nc_u32_e32 v6, 0x3f1, v7
	v_med3_i32 v4, v4, 0, 13
	v_add_nc_u32_e32 v7, 0xfffffc10, v7
	v_or_b32_e32 v9, 0x1000, v2
	v_med3_i32 v6, v6, 0, 13
	v_lshrrev_b32_e32 v10, v4, v8
	v_lshrrev_b32_e32 v11, v6, v9
	v_lshlrev_b32_e32 v4, v4, v10
	v_lshlrev_b32_e32 v6, v6, v11
	v_cmp_ne_u32_e32 vcc_lo, v4, v8
	v_lshl_or_b32 v8, v5, 12, v0
	v_cndmask_b32_e64 v4, 0, 1, vcc_lo
	v_cmp_ne_u32_e32 vcc_lo, v6, v9
	v_lshl_or_b32 v9, v7, 12, v2
	v_or_b32_e32 v4, v10, v4
	v_cndmask_b32_e64 v6, 0, 1, vcc_lo
	v_cmp_gt_i32_e32 vcc_lo, 1, v5
	v_or_b32_e32 v6, v11, v6
	v_cndmask_b32_e32 v4, v8, v4, vcc_lo
	v_cmp_gt_i32_e32 vcc_lo, 1, v7
	v_and_b32_e32 v8, 7, v4
	v_cndmask_b32_e32 v6, v9, v6, vcc_lo
	v_lshrrev_b32_e32 v4, 2, v4
	v_cmp_lt_i32_e32 vcc_lo, 5, v8
	v_cmp_eq_u32_e64 s0, 3, v8
	v_and_b32_e32 v9, 7, v6
	v_lshrrev_b32_e32 v6, 2, v6
	s_or_b32 vcc_lo, s0, vcc_lo
	v_cmp_lt_i32_e64 s1, 5, v9
	v_add_co_ci_u32_e32 v4, vcc_lo, 0, v4, vcc_lo
	v_cmp_eq_u32_e64 s2, 3, v9
	v_cmp_ne_u32_e32 vcc_lo, 0, v0
	v_cndmask_b32_e64 v0, 0, 1, vcc_lo
	s_or_b32 vcc_lo, s2, s1
	v_add_co_ci_u32_e32 v6, vcc_lo, 0, v6, vcc_lo
	v_cmp_ne_u32_e32 vcc_lo, 0, v2
	v_lshl_or_b32 v0, v0, 9, 0x7c00
	v_cndmask_b32_e64 v2, 0, 1, vcc_lo
	v_cmp_gt_i32_e32 vcc_lo, 31, v5
	v_lshl_or_b32 v2, v2, 9, 0x7c00
	v_cndmask_b32_e32 v4, 0x7c00, v4, vcc_lo
	v_cmp_gt_i32_e32 vcc_lo, 31, v7
	v_cndmask_b32_e32 v6, 0x7c00, v6, vcc_lo
	v_cmp_eq_u32_e32 vcc_lo, 0x40f, v5
	v_cndmask_b32_e32 v0, v4, v0, vcc_lo
	v_cmp_eq_u32_e32 vcc_lo, 0x40f, v7
	v_and_or_b32 v0, 0x8000, v1, v0
	v_cndmask_b32_e32 v2, v6, v2, vcc_lo
	v_and_b32_e32 v0, 0xffff, v0
	v_and_or_b32 v1, 0x8000, v3, v2
	v_lshl_or_b32 v2, v1, 16, v0
	v_add_co_u32 v0, vcc_lo, v14, s19
	v_add_co_ci_u32_e32 v1, vcc_lo, s18, v15, vcc_lo
	global_store_dword v[0:1], v2, off
.LBB0_23:
	s_endpgm
	.section	.rodata,"a",@progbits
	.p2align	6, 0x0
	.amdhsa_kernel bluestein_single_back_len1950_dim1_half_op_CI_CI
		.amdhsa_group_segment_fixed_size 7800
		.amdhsa_private_segment_fixed_size 0
		.amdhsa_kernarg_size 104
		.amdhsa_user_sgpr_count 6
		.amdhsa_user_sgpr_private_segment_buffer 1
		.amdhsa_user_sgpr_dispatch_ptr 0
		.amdhsa_user_sgpr_queue_ptr 0
		.amdhsa_user_sgpr_kernarg_segment_ptr 1
		.amdhsa_user_sgpr_dispatch_id 0
		.amdhsa_user_sgpr_flat_scratch_init 0
		.amdhsa_user_sgpr_private_segment_size 0
		.amdhsa_wavefront_size32 1
		.amdhsa_uses_dynamic_stack 0
		.amdhsa_system_sgpr_private_segment_wavefront_offset 0
		.amdhsa_system_sgpr_workgroup_id_x 1
		.amdhsa_system_sgpr_workgroup_id_y 0
		.amdhsa_system_sgpr_workgroup_id_z 0
		.amdhsa_system_sgpr_workgroup_info 0
		.amdhsa_system_vgpr_workitem_id 0
		.amdhsa_next_free_vgpr 156
		.amdhsa_next_free_sgpr 20
		.amdhsa_reserve_vcc 1
		.amdhsa_reserve_flat_scratch 0
		.amdhsa_float_round_mode_32 0
		.amdhsa_float_round_mode_16_64 0
		.amdhsa_float_denorm_mode_32 3
		.amdhsa_float_denorm_mode_16_64 3
		.amdhsa_dx10_clamp 1
		.amdhsa_ieee_mode 1
		.amdhsa_fp16_overflow 0
		.amdhsa_workgroup_processor_mode 1
		.amdhsa_memory_ordered 1
		.amdhsa_forward_progress 0
		.amdhsa_shared_vgpr_count 0
		.amdhsa_exception_fp_ieee_invalid_op 0
		.amdhsa_exception_fp_denorm_src 0
		.amdhsa_exception_fp_ieee_div_zero 0
		.amdhsa_exception_fp_ieee_overflow 0
		.amdhsa_exception_fp_ieee_underflow 0
		.amdhsa_exception_fp_ieee_inexact 0
		.amdhsa_exception_int_div_zero 0
	.end_amdhsa_kernel
	.text
.Lfunc_end0:
	.size	bluestein_single_back_len1950_dim1_half_op_CI_CI, .Lfunc_end0-bluestein_single_back_len1950_dim1_half_op_CI_CI
                                        ; -- End function
	.section	.AMDGPU.csdata,"",@progbits
; Kernel info:
; codeLenInByte = 23716
; NumSgprs: 22
; NumVgprs: 156
; ScratchSize: 0
; MemoryBound: 0
; FloatMode: 240
; IeeeMode: 1
; LDSByteSize: 7800 bytes/workgroup (compile time only)
; SGPRBlocks: 2
; VGPRBlocks: 19
; NumSGPRsForWavesPerEU: 22
; NumVGPRsForWavesPerEU: 156
; Occupancy: 6
; WaveLimiterHint : 1
; COMPUTE_PGM_RSRC2:SCRATCH_EN: 0
; COMPUTE_PGM_RSRC2:USER_SGPR: 6
; COMPUTE_PGM_RSRC2:TRAP_HANDLER: 0
; COMPUTE_PGM_RSRC2:TGID_X_EN: 1
; COMPUTE_PGM_RSRC2:TGID_Y_EN: 0
; COMPUTE_PGM_RSRC2:TGID_Z_EN: 0
; COMPUTE_PGM_RSRC2:TIDIG_COMP_CNT: 0
	.text
	.p2alignl 6, 3214868480
	.fill 48, 4, 3214868480
	.type	__hip_cuid_521536a744548b33,@object ; @__hip_cuid_521536a744548b33
	.section	.bss,"aw",@nobits
	.globl	__hip_cuid_521536a744548b33
__hip_cuid_521536a744548b33:
	.byte	0                               ; 0x0
	.size	__hip_cuid_521536a744548b33, 1

	.ident	"AMD clang version 19.0.0git (https://github.com/RadeonOpenCompute/llvm-project roc-6.4.0 25133 c7fe45cf4b819c5991fe208aaa96edf142730f1d)"
	.section	".note.GNU-stack","",@progbits
	.addrsig
	.addrsig_sym __hip_cuid_521536a744548b33
	.amdgpu_metadata
---
amdhsa.kernels:
  - .args:
      - .actual_access:  read_only
        .address_space:  global
        .offset:         0
        .size:           8
        .value_kind:     global_buffer
      - .actual_access:  read_only
        .address_space:  global
        .offset:         8
        .size:           8
        .value_kind:     global_buffer
      - .actual_access:  read_only
        .address_space:  global
        .offset:         16
        .size:           8
        .value_kind:     global_buffer
      - .actual_access:  read_only
        .address_space:  global
        .offset:         24
        .size:           8
        .value_kind:     global_buffer
      - .actual_access:  read_only
        .address_space:  global
        .offset:         32
        .size:           8
        .value_kind:     global_buffer
      - .offset:         40
        .size:           8
        .value_kind:     by_value
      - .address_space:  global
        .offset:         48
        .size:           8
        .value_kind:     global_buffer
      - .address_space:  global
        .offset:         56
        .size:           8
        .value_kind:     global_buffer
      - .address_space:  global
        .offset:         64
        .size:           8
        .value_kind:     global_buffer
      - .address_space:  global
        .offset:         72
        .size:           8
        .value_kind:     global_buffer
      - .offset:         80
        .size:           4
        .value_kind:     by_value
      - .address_space:  global
        .offset:         88
        .size:           8
        .value_kind:     global_buffer
      - .address_space:  global
        .offset:         96
        .size:           8
        .value_kind:     global_buffer
    .group_segment_fixed_size: 7800
    .kernarg_segment_align: 8
    .kernarg_segment_size: 104
    .language:       OpenCL C
    .language_version:
      - 2
      - 0
    .max_flat_workgroup_size: 195
    .name:           bluestein_single_back_len1950_dim1_half_op_CI_CI
    .private_segment_fixed_size: 0
    .sgpr_count:     22
    .sgpr_spill_count: 0
    .symbol:         bluestein_single_back_len1950_dim1_half_op_CI_CI.kd
    .uniform_work_group_size: 1
    .uses_dynamic_stack: false
    .vgpr_count:     156
    .vgpr_spill_count: 0
    .wavefront_size: 32
    .workgroup_processor_mode: 1
amdhsa.target:   amdgcn-amd-amdhsa--gfx1030
amdhsa.version:
  - 1
  - 2
...

	.end_amdgpu_metadata
